;; amdgpu-corpus repo=ROCm/rocFFT kind=compiled arch=gfx906 opt=O3
	.text
	.amdgcn_target "amdgcn-amd-amdhsa--gfx906"
	.amdhsa_code_object_version 6
	.protected	bluestein_single_back_len1320_dim1_sp_op_CI_CI ; -- Begin function bluestein_single_back_len1320_dim1_sp_op_CI_CI
	.globl	bluestein_single_back_len1320_dim1_sp_op_CI_CI
	.p2align	8
	.type	bluestein_single_back_len1320_dim1_sp_op_CI_CI,@function
bluestein_single_back_len1320_dim1_sp_op_CI_CI: ; @bluestein_single_back_len1320_dim1_sp_op_CI_CI
; %bb.0:
	s_load_dwordx4 s[0:3], s[4:5], 0x28
	v_mul_u32_u24_e32 v1, 0x18e, v0
	v_add_u32_sdwa v56, s6, v1 dst_sel:DWORD dst_unused:UNUSED_PAD src0_sel:DWORD src1_sel:WORD_1
	v_mov_b32_e32 v57, 0
	s_waitcnt lgkmcnt(0)
	v_cmp_gt_u64_e32 vcc, s[0:1], v[56:57]
	s_and_saveexec_b64 s[0:1], vcc
	s_cbranch_execz .LBB0_31
; %bb.1:
	s_load_dwordx2 s[12:13], s[4:5], 0x0
	s_load_dwordx2 s[6:7], s[4:5], 0x38
	s_movk_i32 s0, 0xa5
	v_mul_lo_u16_sdwa v1, v1, s0 dst_sel:DWORD dst_unused:UNUSED_PAD src0_sel:WORD_1 src1_sel:DWORD
	v_sub_u16_e32 v76, v0, v1
	s_movk_i32 s0, 0x78
	v_cmp_gt_u16_e64 s[0:1], s0, v76
	v_lshlrev_b32_e32 v75, 3, v76
	s_and_saveexec_b64 s[8:9], s[0:1]
	s_cbranch_execz .LBB0_3
; %bb.2:
	s_load_dwordx2 s[10:11], s[4:5], 0x18
	s_waitcnt lgkmcnt(0)
	v_mov_b32_e32 v14, s13
	s_load_dwordx4 s[16:19], s[10:11], 0x0
	s_waitcnt lgkmcnt(0)
	v_mad_u64_u32 v[0:1], s[10:11], s18, v56, 0
	v_mad_u64_u32 v[2:3], s[10:11], s16, v76, 0
	;; [unrolled: 1-line block ×4, first 2 shown]
	v_mov_b32_e32 v1, v4
	v_lshlrev_b64 v[0:1], 3, v[0:1]
	v_mov_b32_e32 v3, v5
	v_mov_b32_e32 v6, s3
	v_lshlrev_b64 v[2:3], 3, v[2:3]
	v_add_co_u32_e32 v0, vcc, s2, v0
	v_addc_co_u32_e32 v1, vcc, v6, v1, vcc
	v_add_co_u32_e32 v0, vcc, v0, v2
	s_mul_i32 s2, s17, 0x3c0
	s_mul_hi_u32 s3, s16, 0x3c0
	v_addc_co_u32_e32 v1, vcc, v1, v3, vcc
	s_add_i32 s3, s3, s2
	s_mul_i32 s2, s16, 0x3c0
	global_load_dwordx2 v[2:3], v[0:1], off
	v_mov_b32_e32 v4, s3
	v_add_co_u32_e32 v0, vcc, s2, v0
	v_addc_co_u32_e32 v1, vcc, v1, v4, vcc
	v_add_co_u32_e32 v40, vcc, s12, v75
	s_movk_i32 s10, 0x1000
	v_addc_co_u32_e32 v41, vcc, 0, v14, vcc
	v_add_co_u32_e32 v14, vcc, s10, v40
	v_addc_co_u32_e32 v15, vcc, 0, v41, vcc
	global_load_dwordx2 v[4:5], v75, s[12:13]
	global_load_dwordx2 v[6:7], v75, s[12:13] offset:960
	global_load_dwordx2 v[8:9], v75, s[12:13] offset:1920
	;; [unrolled: 1-line block ×4, first 2 shown]
	global_load_dwordx2 v[16:17], v[14:15], off offset:704
	global_load_dwordx2 v[18:19], v[14:15], off offset:1664
	;; [unrolled: 1-line block ×4, first 2 shown]
	v_mov_b32_e32 v15, s3
	v_add_co_u32_e32 v14, vcc, s2, v0
	v_addc_co_u32_e32 v15, vcc, v1, v15, vcc
	v_mov_b32_e32 v25, s3
	v_add_co_u32_e32 v24, vcc, s2, v14
	v_addc_co_u32_e32 v25, vcc, v15, v25, vcc
	v_mov_b32_e32 v32, s3
	global_load_dwordx2 v[26:27], v[0:1], off
	global_load_dwordx2 v[28:29], v[14:15], off
	global_load_dwordx2 v[30:31], v[24:25], off
	v_add_co_u32_e32 v0, vcc, s2, v24
	v_addc_co_u32_e32 v1, vcc, v25, v32, vcc
	v_mov_b32_e32 v33, s3
	global_load_dwordx2 v[14:15], v[0:1], off
	v_add_co_u32_e32 v0, vcc, s2, v0
	v_addc_co_u32_e32 v1, vcc, v1, v33, vcc
	v_mov_b32_e32 v34, s3
	global_load_dwordx2 v[24:25], v[0:1], off
	v_add_co_u32_e32 v0, vcc, s2, v0
	v_addc_co_u32_e32 v1, vcc, v1, v34, vcc
	v_mov_b32_e32 v35, s3
	v_add_co_u32_e32 v32, vcc, s2, v0
	v_addc_co_u32_e32 v33, vcc, v1, v35, vcc
	v_mov_b32_e32 v38, s3
	global_load_dwordx2 v[34:35], v[0:1], off
	global_load_dwordx2 v[36:37], v[32:33], off
	v_add_co_u32_e32 v0, vcc, s2, v32
	v_addc_co_u32_e32 v1, vcc, v33, v38, vcc
	v_mov_b32_e32 v39, s3
	global_load_dwordx2 v[32:33], v[0:1], off
	v_add_co_u32_e32 v0, vcc, s2, v0
	v_addc_co_u32_e32 v1, vcc, v1, v39, vcc
	v_mov_b32_e32 v44, s3
	s_movk_i32 s3, 0x2000
	v_add_co_u32_e32 v40, vcc, s3, v40
	v_addc_co_u32_e32 v41, vcc, 0, v41, vcc
	global_load_dwordx2 v[38:39], v[0:1], off
	global_load_dwordx2 v[42:43], v[40:41], off offset:448
	v_add_co_u32_e32 v0, vcc, s2, v0
	v_addc_co_u32_e32 v1, vcc, v1, v44, vcc
	global_load_dwordx2 v[44:45], v[0:1], off
	global_load_dwordx2 v[46:47], v[40:41], off offset:1408
	s_waitcnt vmcnt(20)
	v_mul_f32_e32 v0, v2, v5
	v_fma_f32 v1, v3, v4, -v0
	v_mul_f32_e32 v0, v3, v5
	v_fmac_f32_e32 v0, v2, v4
	v_add_u32_e32 v4, 0x400, v75
	s_waitcnt vmcnt(11)
	v_mul_f32_e32 v2, v27, v7
	v_mul_f32_e32 v3, v26, v7
	v_fmac_f32_e32 v2, v26, v6
	v_fma_f32 v3, v27, v6, -v3
	ds_write2_b64 v75, v[0:1], v[2:3] offset1:120
	s_waitcnt vmcnt(10)
	v_mul_f32_e32 v0, v29, v9
	v_mul_f32_e32 v1, v28, v9
	s_waitcnt vmcnt(9)
	v_mul_f32_e32 v2, v31, v11
	v_mul_f32_e32 v3, v30, v11
	v_fmac_f32_e32 v0, v28, v8
	v_fma_f32 v1, v29, v8, -v1
	v_fmac_f32_e32 v2, v30, v10
	v_fma_f32 v3, v31, v10, -v3
	ds_write2_b64 v4, v[0:1], v[2:3] offset0:112 offset1:232
	s_waitcnt vmcnt(8)
	v_mul_f32_e32 v0, v15, v13
	v_mul_f32_e32 v1, v14, v13
	s_waitcnt vmcnt(7)
	v_mul_f32_e32 v2, v25, v17
	v_mul_f32_e32 v3, v24, v17
	v_fmac_f32_e32 v0, v14, v12
	v_fma_f32 v1, v15, v12, -v1
	v_fmac_f32_e32 v2, v24, v16
	v_fma_f32 v3, v25, v16, -v3
	v_add_u32_e32 v4, 0xc00, v75
	ds_write2_b64 v4, v[0:1], v[2:3] offset0:96 offset1:216
	s_waitcnt vmcnt(6)
	v_mul_f32_e32 v0, v35, v19
	v_mul_f32_e32 v1, v34, v19
	s_waitcnt vmcnt(5)
	v_mul_f32_e32 v2, v37, v21
	v_mul_f32_e32 v3, v36, v21
	v_fmac_f32_e32 v0, v34, v18
	v_fma_f32 v1, v35, v18, -v1
	v_fmac_f32_e32 v2, v36, v20
	v_fma_f32 v3, v37, v20, -v3
	v_add_u32_e32 v4, 0x1400, v75
	ds_write2_b64 v4, v[0:1], v[2:3] offset0:80 offset1:200
	s_waitcnt vmcnt(4)
	v_mul_f32_e32 v0, v33, v23
	v_mul_f32_e32 v1, v32, v23
	v_fmac_f32_e32 v0, v32, v22
	v_fma_f32 v1, v33, v22, -v1
	v_add_u32_e32 v4, 0x1c00, v75
	s_waitcnt vmcnt(2)
	v_mul_f32_e32 v2, v39, v43
	v_mul_f32_e32 v3, v38, v43
	v_fmac_f32_e32 v2, v38, v42
	v_fma_f32 v3, v39, v42, -v3
	ds_write2_b64 v4, v[0:1], v[2:3] offset0:64 offset1:184
	s_waitcnt vmcnt(0)
	v_mul_f32_e32 v0, v45, v47
	v_mul_f32_e32 v1, v44, v47
	v_fmac_f32_e32 v0, v44, v46
	v_fma_f32 v1, v45, v46, -v1
	ds_write_b64 v75, v[0:1] offset:9600
.LBB0_3:
	s_or_b64 exec, exec, s[8:9]
	s_load_dwordx2 s[2:3], s[4:5], 0x20
	s_load_dwordx2 s[14:15], s[4:5], 0x8
	v_mov_b32_e32 v0, 0
	v_mov_b32_e32 v1, 0
	s_waitcnt lgkmcnt(0)
	s_barrier
	s_waitcnt lgkmcnt(0)
                                        ; implicit-def: $vgpr6
                                        ; implicit-def: $vgpr16
                                        ; implicit-def: $vgpr22
                                        ; implicit-def: $vgpr14
                                        ; implicit-def: $vgpr10
	s_and_saveexec_b64 s[4:5], s[0:1]
	s_cbranch_execz .LBB0_5
; %bb.4:
	v_add_u32_e32 v4, 0x400, v75
	ds_read2_b64 v[8:11], v4 offset0:112 offset1:232
	v_add_u32_e32 v4, 0xc00, v75
	ds_read2_b64 v[12:15], v4 offset0:96 offset1:216
	v_add_u32_e32 v4, 0x1400, v75
	v_add_u32_e32 v16, 0x1c00, v75
	ds_read2_b64 v[0:3], v75 offset1:120
	ds_read2_b64 v[4:7], v4 offset0:80 offset1:200
	ds_read2_b64 v[16:19], v16 offset0:64 offset1:184
	ds_read_b64 v[22:23], v75 offset:9600
.LBB0_5:
	s_or_b64 exec, exec, s[4:5]
	s_waitcnt lgkmcnt(0)
	v_sub_f32_e32 v45, v3, v23
	v_mul_f32_e32 v28, 0xbf0a6770, v45
	v_sub_f32_e32 v48, v9, v19
	v_add_f32_e32 v24, v22, v2
	v_sub_f32_e32 v47, v2, v22
	v_mov_b32_e32 v20, v28
	v_mul_f32_e32 v34, 0xbf68dda4, v48
	v_add_f32_e32 v25, v23, v3
	s_mov_b32 s8, 0x3f575c64
	v_mul_f32_e32 v32, 0xbf0a6770, v47
	v_fmac_f32_e32 v20, 0x3f575c64, v24
	v_add_f32_e32 v26, v18, v8
	v_sub_f32_e32 v49, v8, v18
	v_mov_b32_e32 v29, v34
	v_add_f32_e32 v20, v20, v0
	v_fma_f32 v21, v25, s8, -v32
	s_mov_b32 s9, 0x3ed4b147
	v_add_f32_e32 v27, v19, v9
	v_mul_f32_e32 v36, 0xbf68dda4, v49
	v_fmac_f32_e32 v29, 0x3ed4b147, v26
	v_sub_f32_e32 v52, v11, v17
	v_add_f32_e32 v21, v21, v1
	v_add_f32_e32 v20, v29, v20
	v_fma_f32 v29, v27, s9, -v36
	v_mul_f32_e32 v38, 0xbf7d64f0, v52
	v_add_f32_e32 v21, v29, v21
	v_add_f32_e32 v29, v16, v10
	v_sub_f32_e32 v59, v10, v16
	v_mov_b32_e32 v30, v38
	s_mov_b32 s10, 0xbe11bafb
	v_add_f32_e32 v33, v17, v11
	v_mul_f32_e32 v40, 0xbf7d64f0, v59
	v_fmac_f32_e32 v30, 0xbe11bafb, v29
	v_sub_f32_e32 v60, v13, v7
	v_add_f32_e32 v20, v30, v20
	v_fma_f32 v30, v33, s10, -v40
	v_mul_f32_e32 v41, 0xbf4178ce, v60
	v_add_f32_e32 v21, v30, v21
	v_add_f32_e32 v35, v6, v12
	v_mov_b32_e32 v30, v41
	v_sub_f32_e32 v67, v12, v6
	v_fmac_f32_e32 v30, 0xbf27a4f4, v35
	s_mov_b32 s11, 0xbf27a4f4
	v_add_f32_e32 v37, v7, v13
	v_mul_f32_e32 v43, 0xbf4178ce, v67
	v_sub_f32_e32 v66, v15, v5
	v_add_f32_e32 v20, v30, v20
	v_fma_f32 v30, v37, s11, -v43
	v_mul_f32_e32 v44, 0xbe903f40, v66
	v_add_f32_e32 v21, v30, v21
	v_add_f32_e32 v39, v4, v14
	v_mov_b32_e32 v30, v44
	v_sub_f32_e32 v68, v14, v4
	s_mov_b32 s16, 0xbf75a155
	v_fmac_f32_e32 v30, 0xbf75a155, v39
	v_add_f32_e32 v42, v5, v15
	v_mul_f32_e32 v46, 0xbe903f40, v68
	v_add_f32_e32 v57, v30, v20
	v_fma_f32 v20, v42, s16, -v46
	v_mul_f32_e32 v50, 0xbf68dda4, v45
	v_add_f32_e32 v58, v20, v21
	v_mov_b32_e32 v20, v50
	v_mul_f32_e32 v51, 0xbf4178ce, v48
	v_fmac_f32_e32 v20, 0x3ed4b147, v24
	v_mov_b32_e32 v21, v51
	v_add_f32_e32 v20, v20, v0
	v_fmac_f32_e32 v21, 0xbf27a4f4, v26
	v_mul_f32_e32 v61, 0xbf68dda4, v47
	v_add_f32_e32 v20, v21, v20
	v_fma_f32 v21, v25, s9, -v61
	v_mul_f32_e32 v62, 0xbf4178ce, v49
	v_add_f32_e32 v21, v21, v1
	v_fma_f32 v30, v27, s11, -v62
	v_mul_f32_e32 v53, 0x3e903f40, v52
	v_add_f32_e32 v21, v30, v21
	v_mov_b32_e32 v30, v53
	v_fmac_f32_e32 v30, 0xbf75a155, v29
	v_mul_f32_e32 v63, 0x3e903f40, v59
	v_add_f32_e32 v20, v30, v20
	v_fma_f32 v30, v33, s16, -v63
	v_mul_f32_e32 v54, 0x3f7d64f0, v60
	v_add_f32_e32 v21, v30, v21
	v_mov_b32_e32 v30, v54
	v_fmac_f32_e32 v30, 0xbe11bafb, v35
	;; [unrolled: 7-line block ×3, first 2 shown]
	v_mul_f32_e32 v65, 0x3f0a6770, v68
	v_add_f32_e32 v30, v30, v20
	v_fma_f32 v20, v42, s8, -v65
	v_mul_f32_e32 v69, 0xbf7d64f0, v45
	v_add_f32_e32 v31, v20, v21
	v_mov_b32_e32 v20, v69
	v_mul_f32_e32 v70, 0x3e903f40, v48
	v_fmac_f32_e32 v20, 0xbe11bafb, v24
	v_mov_b32_e32 v21, v70
	v_add_f32_e32 v20, v20, v0
	v_fmac_f32_e32 v21, 0xbf75a155, v26
	v_mul_f32_e32 v74, 0xbf7d64f0, v47
	v_add_f32_e32 v20, v21, v20
	v_fma_f32 v21, v25, s10, -v74
	v_mul_f32_e32 v77, 0x3e903f40, v49
	v_add_f32_e32 v21, v21, v1
	v_fma_f32 v71, v27, s16, -v77
	v_add_f32_e32 v21, v71, v21
	v_mul_f32_e32 v71, 0x3f68dda4, v52
	v_mov_b32_e32 v72, v71
	v_fmac_f32_e32 v72, 0x3ed4b147, v29
	v_mul_f32_e32 v79, 0x3f68dda4, v59
	v_add_f32_e32 v20, v72, v20
	v_fma_f32 v72, v33, s9, -v79
	v_add_f32_e32 v21, v72, v21
	v_mul_f32_e32 v72, 0xbf0a6770, v60
	v_mov_b32_e32 v73, v72
	v_fmac_f32_e32 v73, 0x3f575c64, v35
	;; [unrolled: 7-line block ×3, first 2 shown]
	v_mul_f32_e32 v81, 0xbf4178ce, v68
	v_add_f32_e32 v20, v78, v20
	v_fma_f32 v78, v42, s11, -v81
	v_add_f32_e32 v21, v78, v21
	v_mul_lo_u16_e32 v78, 11, v76
	s_barrier
	s_and_saveexec_b64 s[4:5], s[0:1]
	s_cbranch_execz .LBB0_7
; %bb.6:
	v_mul_f32_e32 v84, 0xbf75a155, v25
	v_mov_b32_e32 v82, v84
	v_mul_f32_e32 v85, 0x3f575c64, v27
	v_fmac_f32_e32 v82, 0x3e903f40, v47
	v_mov_b32_e32 v83, v85
	v_add_f32_e32 v82, v82, v1
	v_fmac_f32_e32 v83, 0xbf0a6770, v49
	v_mul_f32_e32 v86, 0xbf27a4f4, v33
	v_add_f32_e32 v82, v83, v82
	v_mov_b32_e32 v83, v86
	v_fmac_f32_e32 v83, 0x3f4178ce, v59
	v_mul_f32_e32 v87, 0x3ed4b147, v37
	v_add_f32_e32 v82, v83, v82
	v_mov_b32_e32 v83, v87
	;; [unrolled: 4-line block ×3, first 2 shown]
	v_mul_f32_e32 v89, 0x3f0a6770, v48
	v_fmac_f32_e32 v83, 0xbf75a155, v24
	v_mov_b32_e32 v90, v89
	v_add_f32_e32 v83, v83, v0
	v_fmac_f32_e32 v90, 0x3f575c64, v26
	v_add_f32_e32 v83, v90, v83
	v_mul_f32_e32 v90, 0xbf4178ce, v52
	v_mov_b32_e32 v91, v90
	v_fmac_f32_e32 v84, 0xbe903f40, v47
	v_fmac_f32_e32 v91, 0xbf27a4f4, v29
	v_add_f32_e32 v84, v84, v1
	v_fmac_f32_e32 v85, 0x3f0a6770, v49
	v_add_f32_e32 v83, v91, v83
	v_mul_f32_e32 v91, 0x3f68dda4, v60
	v_add_f32_e32 v84, v85, v84
	v_fmac_f32_e32 v86, 0xbf4178ce, v59
	v_fma_f32 v85, v24, s16, -v88
	v_mov_b32_e32 v92, v91
	v_add_f32_e32 v84, v86, v84
	v_add_f32_e32 v85, v85, v0
	v_fma_f32 v86, v26, s8, -v89
	v_fmac_f32_e32 v92, 0x3ed4b147, v35
	v_mul_f32_e32 v93, 0xbe11bafb, v42
	v_fmac_f32_e32 v87, 0x3f68dda4, v67
	v_add_f32_e32 v85, v86, v85
	v_fma_f32 v86, v29, s11, -v90
	v_add_f32_e32 v92, v92, v83
	v_mov_b32_e32 v83, v93
	v_mul_f32_e32 v94, 0xbf7d64f0, v66
	v_add_f32_e32 v84, v87, v84
	v_add_f32_e32 v85, v86, v85
	v_fma_f32 v86, v35, s9, -v91
	v_fmac_f32_e32 v93, 0xbf7d64f0, v68
	v_add_f32_e32 v86, v86, v85
	v_add_f32_e32 v85, v93, v84
	v_fma_f32 v84, v39, s10, -v94
	v_add_f32_e32 v84, v84, v86
	v_mul_f32_e32 v86, 0xbf4178ce, v47
	v_mov_b32_e32 v47, v86
	v_mul_f32_e32 v87, 0x3f7d64f0, v49
	v_fmac_f32_e32 v47, 0xbf27a4f4, v25
	v_mov_b32_e32 v49, v87
	v_mul_f32_e32 v89, 0xbf4178ce, v45
	v_add_f32_e32 v47, v47, v1
	v_fmac_f32_e32 v49, 0xbe11bafb, v27
	v_mul_f32_e32 v88, 0xbf0a6770, v59
	v_fma_f32 v45, v24, s11, -v89
	v_mul_f32_e32 v90, 0x3f7d64f0, v48
	v_add_f32_e32 v47, v49, v47
	v_mov_b32_e32 v49, v88
	v_add_f32_e32 v45, v45, v0
	v_fma_f32 v48, v26, s10, -v90
	v_mul_f32_e32 v52, 0xbf0a6770, v52
	v_fmac_f32_e32 v49, 0x3f575c64, v33
	v_mul_f32_e32 v67, 0xbe903f40, v67
	v_add_f32_e32 v45, v48, v45
	v_fma_f32 v48, v29, s8, -v52
	v_mul_f32_e32 v91, 0xbe903f40, v60
	v_fmac_f32_e32 v83, 0x3f7d64f0, v68
	v_add_f32_e32 v47, v49, v47
	v_mov_b32_e32 v49, v67
	v_add_f32_e32 v45, v48, v45
	v_fma_f32 v48, v35, s16, -v91
	v_mul_f32_e32 v68, 0x3f68dda4, v68
	v_fmac_f32_e32 v49, 0xbf75a155, v37
	v_add_f32_e32 v45, v48, v45
	v_mov_b32_e32 v48, v68
	v_add_f32_e32 v47, v49, v47
	v_fmac_f32_e32 v48, 0x3ed4b147, v42
	v_mul_f32_e32 v66, 0x3f68dda4, v66
	v_add_f32_e32 v48, v48, v47
	v_fma_f32 v47, v39, s9, -v66
	v_add_f32_e32 v47, v47, v45
	v_mul_f32_e32 v45, 0xbe11bafb, v25
	v_add_f32_e32 v45, v74, v45
	v_mul_f32_e32 v49, 0xbf75a155, v27
	v_mul_f32_e32 v59, 0xbe11bafb, v24
	v_add_f32_e32 v49, v77, v49
	v_add_f32_e32 v45, v45, v1
	v_sub_f32_e32 v59, v59, v69
	v_mul_f32_e32 v60, 0xbf75a155, v26
	v_add_f32_e32 v45, v49, v45
	v_mul_f32_e32 v49, 0x3ed4b147, v33
	v_sub_f32_e32 v60, v60, v70
	v_add_f32_e32 v59, v59, v0
	v_add_f32_e32 v49, v79, v49
	;; [unrolled: 1-line block ×3, first 2 shown]
	v_mul_f32_e32 v60, 0x3ed4b147, v29
	v_add_f32_e32 v45, v49, v45
	v_mul_f32_e32 v49, 0x3f575c64, v37
	v_sub_f32_e32 v60, v60, v71
	v_add_f32_e32 v49, v80, v49
	v_add_f32_e32 v59, v60, v59
	v_mul_f32_e32 v60, 0x3f575c64, v35
	v_add_f32_e32 v45, v49, v45
	v_mul_f32_e32 v49, 0xbf27a4f4, v42
	v_sub_f32_e32 v60, v60, v72
	v_add_f32_e32 v49, v81, v49
	v_add_f32_e32 v59, v60, v59
	v_mul_f32_e32 v60, 0xbf27a4f4, v39
	v_sub_f32_e32 v69, v60, v73
	v_add_f32_e32 v60, v49, v45
	v_mul_f32_e32 v49, 0x3ed4b147, v25
	v_add_f32_e32 v49, v61, v49
	v_mul_f32_e32 v61, 0xbf27a4f4, v27
	v_add_f32_e32 v61, v62, v61
	v_add_f32_e32 v49, v49, v1
	v_add_f32_e32 v49, v61, v49
	v_mul_f32_e32 v61, 0xbf75a155, v33
	v_add_f32_e32 v61, v63, v61
	v_add_f32_e32 v49, v61, v49
	v_mul_f32_e32 v61, 0xbe11bafb, v37
	v_add_f32_e32 v61, v64, v61
	v_mul_f32_e32 v62, 0x3ed4b147, v24
	;; [unrolled: 2-line block ×4, first 2 shown]
	v_sub_f32_e32 v50, v62, v50
	v_sub_f32_e32 v51, v65, v51
	v_add_f32_e32 v50, v50, v0
	v_add_f32_e32 v50, v51, v50
	v_mul_f32_e32 v51, 0xbf75a155, v29
	v_sub_f32_e32 v51, v51, v53
	v_mul_f32_e32 v45, 0x3f575c64, v25
	v_add_f32_e32 v50, v51, v50
	v_mul_f32_e32 v51, 0xbe11bafb, v35
	v_add_f32_e32 v2, v2, v0
	v_mul_f32_e32 v64, 0x3ed4b147, v27
	v_sub_f32_e32 v51, v51, v54
	v_add_f32_e32 v32, v32, v45
	v_add_f32_e32 v3, v3, v1
	;; [unrolled: 1-line block ×3, first 2 shown]
	v_mul_f32_e32 v65, 0xbe11bafb, v33
	v_add_f32_e32 v51, v51, v50
	v_mul_f32_e32 v50, 0x3f575c64, v39
	v_add_f32_e32 v32, v32, v1
	v_add_f32_e32 v36, v36, v64
	;; [unrolled: 1-line block ×4, first 2 shown]
	v_mul_f32_e32 v54, 0xbf27a4f4, v37
	v_sub_f32_e32 v55, v50, v55
	v_add_f32_e32 v32, v36, v32
	v_add_f32_e32 v36, v40, v65
	;; [unrolled: 1-line block ×4, first 2 shown]
	v_mul_f32_e32 v70, 0x3f575c64, v24
	v_add_f32_e32 v50, v61, v49
	v_add_f32_e32 v49, v55, v51
	v_mul_f32_e32 v51, 0xbf75a155, v42
	v_add_f32_e32 v32, v36, v32
	v_add_f32_e32 v36, v43, v54
	;; [unrolled: 1-line block ×4, first 2 shown]
	v_mul_f32_e32 v63, 0x3ed4b147, v26
	v_add_f32_e32 v32, v36, v32
	v_add_f32_e32 v36, v46, v51
	v_sub_f32_e32 v28, v70, v28
	v_add_f32_e32 v3, v15, v3
	v_add_f32_e32 v2, v4, v2
	v_fma_f32 v4, v25, s11, -v86
	v_mul_f32_e32 v62, 0xbe11bafb, v29
	v_add_f32_e32 v45, v36, v32
	v_add_f32_e32 v28, v28, v0
	v_sub_f32_e32 v32, v63, v34
	v_add_f32_e32 v3, v5, v3
	v_add_f32_e32 v1, v4, v1
	v_fma_f32 v4, v27, s10, -v87
	v_fmac_f32_e32 v89, 0xbf27a4f4, v24
	v_mul_f32_e32 v53, 0xbf27a4f4, v35
	v_add_f32_e32 v28, v32, v28
	v_sub_f32_e32 v32, v62, v38
	v_add_f32_e32 v3, v7, v3
	v_add_f32_e32 v2, v6, v2
	;; [unrolled: 1-line block ×3, first 2 shown]
	v_fma_f32 v4, v33, s8, -v88
	v_add_f32_e32 v0, v89, v0
	v_fmac_f32_e32 v90, 0xbe11bafb, v26
	v_add_f32_e32 v59, v69, v59
	v_mul_f32_e32 v69, 0xbf75a155, v39
	v_add_f32_e32 v28, v32, v28
	v_sub_f32_e32 v32, v53, v41
	v_add_f32_e32 v3, v17, v3
	v_add_f32_e32 v2, v16, v2
	;; [unrolled: 1-line block ×3, first 2 shown]
	v_fma_f32 v4, v37, s16, -v67
	v_add_f32_e32 v0, v90, v0
	v_fmac_f32_e32 v52, 0x3f575c64, v29
	v_add_f32_e32 v83, v83, v82
	v_mov_b32_e32 v82, v94
	v_add_f32_e32 v28, v32, v28
	v_sub_f32_e32 v32, v69, v44
	v_add_f32_e32 v3, v19, v3
	v_add_f32_e32 v2, v18, v2
	;; [unrolled: 1-line block ×3, first 2 shown]
	v_fma_f32 v4, v42, s9, -v68
	v_add_f32_e32 v0, v52, v0
	v_fmac_f32_e32 v91, 0xbf75a155, v35
	v_fmac_f32_e32 v82, 0xbe11bafb, v39
	v_add_f32_e32 v44, v32, v28
	v_add_f32_e32 v3, v23, v3
	;; [unrolled: 1-line block ×5, first 2 shown]
	v_fmac_f32_e32 v66, 0x3ed4b147, v39
	v_lshlrev_b32_e32 v4, 3, v78
	v_add_f32_e32 v82, v82, v92
	v_add_f32_e32 v0, v66, v0
	ds_write2_b64 v4, v[2:3], v[44:45] offset1:1
	ds_write2_b64 v4, v[49:50], v[59:60] offset0:2 offset1:3
	ds_write2_b64 v4, v[47:48], v[84:85] offset0:4 offset1:5
	;; [unrolled: 1-line block ×4, first 2 shown]
	ds_write_b64 v4, v[57:58] offset:80
.LBB0_7:
	s_or_b64 exec, exec, s[4:5]
	s_load_dwordx4 s[8:11], s[2:3], 0x0
	s_movk_i32 s2, 0x75
	v_mul_lo_u16_sdwa v1, v76, s2 dst_sel:DWORD dst_unused:UNUSED_PAD src0_sel:BYTE_0 src1_sel:DWORD
	v_sub_u16_sdwa v2, v76, v1 dst_sel:DWORD dst_unused:UNUSED_PAD src0_sel:DWORD src1_sel:BYTE_1
	v_lshrrev_b16_e32 v2, 1, v2
	v_and_b32_e32 v2, 0x7f, v2
	v_add_u16_sdwa v1, v2, v1 dst_sel:DWORD dst_unused:UNUSED_PAD src0_sel:DWORD src1_sel:BYTE_1
	v_add_u16_e32 v25, 0x14a, v76
	v_lshrrev_b16_e32 v9, 3, v1
	v_mul_u32_u24_e32 v8, 0xba2f, v25
	v_mul_lo_u16_e32 v1, 11, v9
	v_lshrrev_b32_e32 v18, 19, v8
	v_add_co_u32_e32 v0, vcc, 0x1ef, v76
	v_sub_u16_e32 v1, v76, v1
	v_add_u16_e32 v24, 0xa5, v76
	s_mov_b32 s2, 0xba2f
	v_mul_lo_u16_e32 v3, 11, v18
	v_and_b32_e32 v10, 0xff, v1
	v_mul_u32_u24_e32 v12, 0xba2f, v24
	v_sub_u16_e32 v19, v25, v3
	v_mul_u32_u24_sdwa v4, v0, s2 dst_sel:DWORD dst_unused:UNUSED_PAD src0_sel:WORD_0 src1_sel:DWORD
	v_lshlrev_b32_e32 v1, 3, v10
	v_lshrrev_b32_e32 v11, 19, v12
	v_lshlrev_b32_e32 v3, 3, v19
	v_lshrrev_b32_e32 v22, 19, v4
	s_waitcnt lgkmcnt(0)
	s_barrier
	v_mul_lo_u16_e32 v2, 11, v11
	global_load_dwordx2 v[65:66], v1, s[14:15]
	global_load_dwordx2 v[61:62], v3, s[14:15]
	v_mul_lo_u16_e32 v1, 11, v22
	v_sub_u16_e32 v17, v24, v2
	v_sub_u16_e32 v23, v0, v1
	v_lshlrev_b32_e32 v2, 3, v17
	v_lshlrev_b32_e32 v0, 3, v23
	global_load_dwordx2 v[63:64], v2, s[14:15]
	global_load_dwordx2 v[59:60], v0, s[14:15]
	v_mov_b32_e32 v0, 3
	v_lshlrev_b32_sdwa v77, v0, v76 dst_sel:DWORD dst_unused:UNUSED_PAD src0_sel:DWORD src1_sel:WORD_0
	v_add_u32_e32 v4, 0x1400, v77
	v_add_u32_e32 v13, 0x800, v77
	;; [unrolled: 1-line block ×3, first 2 shown]
	ds_read2_b64 v[0:3], v77 offset1:165
	ds_read2_b64 v[4:7], v4 offset0:20 offset1:185
	ds_read2_b64 v[13:16], v13 offset0:74 offset1:239
	;; [unrolled: 1-line block ×3, first 2 shown]
	v_mul_u32_u24_e32 v9, 22, v9
	v_mad_legacy_u16 v11, v11, 22, v17
	v_mad_legacy_u16 v17, v18, 22, v19
	;; [unrolled: 1-line block ×3, first 2 shown]
	v_add_lshl_u32 v86, v9, v10, 3
	v_lshlrev_b32_e32 v85, 3, v11
	v_lshlrev_b32_e32 v84, 3, v17
	;; [unrolled: 1-line block ×3, first 2 shown]
	s_waitcnt vmcnt(0) lgkmcnt(0)
	s_barrier
	s_movk_i32 s2, 0x6e
	v_cmp_gt_u16_e64 s[2:3], s2, v76
	v_mul_f32_e32 v9, v5, v66
	v_mul_f32_e32 v10, v4, v66
	;; [unrolled: 1-line block ×4, first 2 shown]
	v_fma_f32 v4, v4, v65, -v9
	v_fmac_f32_e32 v10, v5, v65
	v_fma_f32 v9, v26, v61, -v18
	v_mul_f32_e32 v11, v7, v64
	v_mul_f32_e32 v17, v6, v64
	;; [unrolled: 1-line block ×4, first 2 shown]
	v_fma_f32 v6, v6, v63, -v11
	v_fmac_f32_e32 v17, v7, v63
	v_fmac_f32_e32 v19, v27, v61
	v_fma_f32 v11, v28, v59, -v22
	v_fmac_f32_e32 v23, v29, v59
	v_sub_f32_e32 v4, v0, v4
	v_sub_f32_e32 v5, v1, v10
	;; [unrolled: 1-line block ×8, first 2 shown]
	v_fma_f32 v0, v0, 2.0, -v4
	v_fma_f32 v1, v1, 2.0, -v5
	;; [unrolled: 1-line block ×8, first 2 shown]
	ds_write2_b64 v86, v[0:1], v[4:5] offset1:11
	ds_write2_b64 v85, v[2:3], v[6:7] offset1:11
	ds_write2_b64 v84, v[13:14], v[9:10] offset1:11
	ds_write2_b64 v83, v[32:33], v[22:23] offset1:11
	v_add_u32_e32 v0, 0xc00, v77
	v_add_u32_e32 v4, 0x1a00, v77
	s_waitcnt lgkmcnt(0)
	s_barrier
	ds_read2_b64 v[26:29], v77 offset1:165
	ds_read2_b64 v[0:3], v0 offset0:56 offset1:221
	ds_read2_b64 v[4:7], v4 offset0:48 offset1:213
	s_and_saveexec_b64 s[4:5], s[2:3]
	s_cbranch_execz .LBB0_9
; %bb.8:
	ds_read_b64 v[32:33], v77 offset:2640
	ds_read_b64 v[22:23], v77 offset:6160
	;; [unrolled: 1-line block ×3, first 2 shown]
.LBB0_9:
	s_or_b64 exec, exec, s[4:5]
	v_lshrrev_b16_e32 v9, 1, v76
	v_and_b32_e32 v13, 0x7f, v9
	v_lshrrev_b32_e32 v81, 20, v8
	v_mul_lo_u16_e32 v8, 22, v81
	v_mul_lo_u16_e32 v13, 0xbb, v13
	v_sub_u16_e32 v82, v25, v8
	v_lshrrev_b16_e32 v34, 11, v13
	v_lshrrev_b32_e32 v40, 20, v12
	v_lshlrev_b16_e32 v8, 4, v82
	v_mul_lo_u16_e32 v13, 22, v34
	v_mul_lo_u16_e32 v12, 22, v40
	v_mov_b32_e32 v14, s15
	v_add_co_u32_e32 v8, vcc, s14, v8
	v_sub_u16_e32 v13, v76, v13
	v_sub_u16_e32 v41, v24, v12
	v_addc_co_u32_e32 v9, vcc, 0, v14, vcc
	v_and_b32_e32 v35, 0xff, v13
	v_lshlrev_b16_e32 v12, 4, v41
	v_lshlrev_b32_e32 v13, 4, v35
	v_add_co_u32_e32 v12, vcc, s14, v12
	global_load_dwordx4 v[8:11], v[8:9], off offset:88
	s_movk_i32 s16, 0x42
	global_load_dwordx4 v[16:19], v13, s[14:15] offset:88
	v_addc_co_u32_e32 v13, vcc, 0, v14, vcc
	global_load_dwordx4 v[12:15], v[12:13], off offset:88
	s_waitcnt vmcnt(0) lgkmcnt(0)
	s_barrier
	v_mul_f32_e32 v36, v23, v9
	v_mul_f32_e32 v39, v22, v9
	;; [unrolled: 1-line block ×7, first 2 shown]
	v_fma_f32 v22, v22, v8, -v36
	v_fmac_f32_e32 v39, v23, v8
	v_fma_f32 v23, v20, v10, -v37
	v_mul_f32_e32 v46, v4, v19
	v_mul_f32_e32 v47, v3, v13
	;; [unrolled: 1-line block ×3, first 2 shown]
	v_fma_f32 v0, v0, v16, -v38
	v_fmac_f32_e32 v44, v1, v16
	v_fma_f32 v1, v4, v18, -v45
	v_fmac_f32_e32 v42, v21, v10
	v_add_f32_e32 v20, v32, v22
	v_add_f32_e32 v21, v22, v23
	v_mul_f32_e32 v48, v2, v13
	v_fmac_f32_e32 v46, v5, v18
	v_fma_f32 v2, v2, v12, -v47
	v_fma_f32 v4, v6, v14, -v49
	v_add_f32_e32 v5, v0, v1
	v_mul_f32_e32 v50, v6, v15
	v_add_f32_e32 v36, v20, v23
	v_fmac_f32_e32 v32, -0.5, v21
	v_fmac_f32_e32 v48, v3, v12
	v_add_f32_e32 v3, v26, v0
	v_add_f32_e32 v20, v28, v2
	;; [unrolled: 1-line block ×3, first 2 shown]
	v_sub_f32_e32 v51, v2, v4
	v_fma_f32 v2, -0.5, v5, v26
	v_add_f32_e32 v26, v39, v42
	v_add_f32_e32 v37, v33, v39
	v_fmac_f32_e32 v50, v7, v14
	v_add_f32_e32 v7, v44, v46
	v_fmac_f32_e32 v33, -0.5, v26
	v_sub_f32_e32 v43, v39, v42
	v_sub_f32_e32 v45, v44, v46
	v_add_f32_e32 v6, v27, v44
	v_sub_f32_e32 v44, v0, v1
	v_add_f32_e32 v0, v3, v1
	v_fma_f32 v3, -0.5, v7, v27
	v_sub_f32_e32 v22, v22, v23
	v_mov_b32_e32 v39, v33
	v_sub_f32_e32 v47, v48, v50
	v_add_f32_e32 v49, v29, v48
	v_add_f32_e32 v48, v48, v50
	;; [unrolled: 1-line block ×3, first 2 shown]
	v_mov_b32_e32 v6, v2
	v_mov_b32_e32 v7, v3
	v_fmac_f32_e32 v39, 0xbf5db3d7, v22
	v_fmac_f32_e32 v33, 0x3f5db3d7, v22
	v_mul_u32_u24_e32 v22, 0x42, v34
	v_fma_f32 v28, -0.5, v21, v28
	v_fmac_f32_e32 v29, -0.5, v48
	v_fmac_f32_e32 v6, 0x3f5db3d7, v45
	v_fmac_f32_e32 v7, 0xbf5db3d7, v44
	v_add_lshl_u32 v87, v22, v35, 3
	v_mov_b32_e32 v38, v32
	v_add_f32_e32 v4, v20, v4
	v_fmac_f32_e32 v2, 0xbf5db3d7, v45
	v_fmac_f32_e32 v3, 0x3f5db3d7, v44
	v_mov_b32_e32 v20, v28
	v_mov_b32_e32 v21, v29
	ds_write2_b64 v87, v[0:1], v[6:7] offset1:22
	ds_write_b64 v87, v[2:3] offset:352
	v_mad_legacy_u16 v0, v40, s16, v41
	v_add_f32_e32 v37, v37, v42
	v_fmac_f32_e32 v32, 0xbf5db3d7, v43
	v_fmac_f32_e32 v38, 0x3f5db3d7, v43
	v_add_f32_e32 v5, v49, v50
	v_fmac_f32_e32 v28, 0xbf5db3d7, v47
	v_fmac_f32_e32 v29, 0x3f5db3d7, v51
	;; [unrolled: 1-line block ×4, first 2 shown]
	v_lshlrev_b32_e32 v88, 3, v0
	ds_write2_b64 v88, v[4:5], v[20:21] offset1:22
	ds_write_b64 v88, v[28:29] offset:352
	s_and_saveexec_b64 s[4:5], s[2:3]
	s_cbranch_execz .LBB0_11
; %bb.10:
	v_mul_u32_u24_e32 v0, 0xba2f, v25
	v_lshrrev_b32_e32 v0, 20, v0
	v_mad_legacy_u16 v0, v0, s16, v82
	v_lshlrev_b32_e32 v0, 3, v0
	ds_write2_b64 v0, v[36:37], v[38:39] offset1:22
	ds_write_b64 v0, v[32:33] offset:352
.LBB0_11:
	s_or_b64 exec, exec, s[4:5]
	s_waitcnt lgkmcnt(0)
	s_barrier
	ds_read_b64 v[34:35], v77
	ds_read_b64 v[46:47], v77 offset:2112
	ds_read_b64 v[44:45], v77 offset:4224
	;; [unrolled: 1-line block ×4, first 2 shown]
	s_movk_i32 s4, 0x63
	v_cmp_gt_u16_e64 s[4:5], s4, v76
	s_and_saveexec_b64 s[16:17], s[4:5]
	s_cbranch_execz .LBB0_13
; %bb.12:
	ds_read_b64 v[28:29], v77 offset:1320
	ds_read_b64 v[36:37], v77 offset:3432
	;; [unrolled: 1-line block ×5, first 2 shown]
.LBB0_13:
	s_or_b64 exec, exec, s[16:17]
	v_mul_u32_u24_e32 v0, 0xf83f, v24
	v_lshrrev_b32_e32 v79, 22, v0
	v_mul_lo_u16_e32 v0, 0x42, v79
	v_sub_u16_e32 v80, v24, v0
	v_lshlrev_b16_e32 v0, 5, v80
	v_mov_b32_e32 v1, s15
	v_add_co_u32_e32 v20, vcc, s14, v0
	v_addc_co_u32_e32 v21, vcc, 0, v1, vcc
	s_movk_i32 s16, 0xf9
	global_load_dwordx4 v[0:3], v[20:21], off offset:456
	global_load_dwordx4 v[4:7], v[20:21], off offset:440
	v_mul_lo_u16_sdwa v20, v76, s16 dst_sel:DWORD dst_unused:UNUSED_PAD src0_sel:BYTE_0 src1_sel:DWORD
	v_lshrrev_b16_e32 v89, 14, v20
	v_mul_lo_u16_e32 v20, 0x42, v89
	v_sub_u16_e32 v20, v76, v20
	v_and_b32_e32 v90, 0xff, v20
	v_lshlrev_b32_e32 v48, 5, v90
	global_load_dwordx4 v[24:27], v48, s[14:15] offset:440
	global_load_dwordx4 v[20:23], v48, s[14:15] offset:456
	v_mul_u32_u24_e32 v89, 0x14a, v89
	s_movk_i32 s18, 0x14a
	v_add_lshl_u32 v89, v89, v90, 3
	s_waitcnt vmcnt(0) lgkmcnt(0)
	s_barrier
	v_mul_f32_e32 v51, v30, v3
	v_mul_f32_e32 v52, v37, v5
	;; [unrolled: 1-line block ×6, first 2 shown]
	v_fmac_f32_e32 v51, v31, v2
	v_mul_f32_e32 v67, v47, v25
	v_mul_f32_e32 v92, v44, v27
	;; [unrolled: 1-line block ×5, first 2 shown]
	v_fma_f32 v31, v46, v24, -v67
	v_fmac_f32_e32 v92, v45, v26
	v_fmac_f32_e32 v93, v43, v20
	v_mul_f32_e32 v48, v36, v5
	v_mul_f32_e32 v49, v38, v7
	;; [unrolled: 1-line block ×3, first 2 shown]
	v_fma_f32 v52, v36, v4, -v52
	v_fma_f32 v53, v38, v6, -v53
	;; [unrolled: 1-line block ×3, first 2 shown]
	v_fmac_f32_e32 v50, v33, v0
	v_fma_f32 v33, v44, v26, -v68
	v_fma_f32 v36, v42, v20, -v69
	v_add_f32_e32 v38, v34, v31
	v_add_f32_e32 v54, v92, v93
	v_mul_f32_e32 v91, v46, v25
	v_mul_f32_e32 v94, v40, v23
	v_fmac_f32_e32 v48, v37, v4
	v_fmac_f32_e32 v49, v39, v6
	v_fma_f32 v30, v30, v2, -v55
	v_fma_f32 v37, v40, v22, -v70
	v_add_f32_e32 v39, v33, v36
	v_sub_f32_e32 v42, v31, v33
	v_sub_f32_e32 v45, v33, v31
	;; [unrolled: 1-line block ×3, first 2 shown]
	v_add_f32_e32 v33, v38, v33
	v_fma_f32 v68, -0.5, v54, v35
	v_fmac_f32_e32 v91, v47, v24
	v_fmac_f32_e32 v94, v41, v22
	v_add_f32_e32 v44, v31, v37
	v_sub_f32_e32 v31, v31, v37
	v_add_f32_e32 v33, v33, v36
	v_mov_b32_e32 v70, v68
	v_sub_f32_e32 v72, v91, v92
	v_add_f32_e32 v73, v33, v37
	v_fmac_f32_e32 v70, 0xbf737871, v31
	v_sub_f32_e32 v33, v94, v93
	v_fmac_f32_e32 v68, 0x3f737871, v31
	v_fmac_f32_e32 v70, 0xbf167918, v55
	v_add_f32_e32 v33, v72, v33
	v_fmac_f32_e32 v68, 0x3f167918, v55
	v_sub_f32_e32 v43, v37, v36
	v_add_f32_e32 v47, v35, v91
	v_fmac_f32_e32 v70, 0x3e9e377a, v33
	v_fmac_f32_e32 v68, 0x3e9e377a, v33
	v_add_f32_e32 v33, v91, v94
	v_add_f32_e32 v38, v42, v43
	;; [unrolled: 1-line block ×3, first 2 shown]
	v_fmac_f32_e32 v35, -0.5, v33
	v_sub_f32_e32 v46, v36, v37
	v_add_f32_e32 v36, v42, v93
	v_mov_b32_e32 v72, v35
	v_add_f32_e32 v74, v36, v94
	v_fmac_f32_e32 v72, 0x3f737871, v55
	v_sub_f32_e32 v33, v92, v91
	v_sub_f32_e32 v36, v93, v94
	v_fmac_f32_e32 v35, 0xbf737871, v55
	v_fma_f32 v67, -0.5, v39, v34
	v_fma_f32 v34, -0.5, v44, v34
	v_fmac_f32_e32 v72, 0xbf167918, v31
	v_add_f32_e32 v33, v33, v36
	v_fmac_f32_e32 v35, 0x3f167918, v31
	v_add_f32_e32 v31, v53, v32
	v_sub_f32_e32 v41, v92, v93
	v_mov_b32_e32 v71, v34
	v_fmac_f32_e32 v72, 0x3e9e377a, v33
	v_fmac_f32_e32 v35, 0x3e9e377a, v33
	v_fma_f32 v33, -0.5, v31, v28
	v_sub_f32_e32 v31, v52, v53
	v_sub_f32_e32 v36, v30, v32
	;; [unrolled: 1-line block ×3, first 2 shown]
	v_fmac_f32_e32 v34, 0x3f737871, v41
	v_fmac_f32_e32 v71, 0xbf737871, v41
	v_add_f32_e32 v42, v31, v36
	v_sub_f32_e32 v36, v53, v52
	v_sub_f32_e32 v37, v32, v30
	v_add_f32_e32 v39, v45, v46
	v_fmac_f32_e32 v34, 0xbf167918, v40
	v_fmac_f32_e32 v71, 0x3f167918, v40
	v_add_f32_e32 v44, v36, v37
	v_add_f32_e32 v37, v49, v50
	v_mov_b32_e32 v69, v67
	v_fmac_f32_e32 v34, 0x3e9e377a, v39
	v_fmac_f32_e32 v71, 0x3e9e377a, v39
	v_fma_f32 v45, -0.5, v37, v29
	v_sub_f32_e32 v37, v48, v49
	v_sub_f32_e32 v39, v51, v50
	v_fmac_f32_e32 v67, 0xbf737871, v40
	v_fmac_f32_e32 v69, 0x3f737871, v40
	v_add_f32_e32 v31, v52, v30
	v_add_f32_e32 v54, v37, v39
	;; [unrolled: 1-line block ×3, first 2 shown]
	v_fmac_f32_e32 v67, 0xbf167918, v41
	v_fmac_f32_e32 v69, 0x3f167918, v41
	v_fma_f32 v31, -0.5, v31, v28
	v_fma_f32 v43, -0.5, v37, v29
	v_sub_f32_e32 v37, v49, v48
	v_sub_f32_e32 v55, v50, v51
	v_fmac_f32_e32 v67, 0x3e9e377a, v38
	v_fmac_f32_e32 v69, 0x3e9e377a, v38
	v_sub_f32_e32 v40, v48, v51
	v_sub_f32_e32 v41, v49, v50
	v_mov_b32_e32 v38, v33
	v_mov_b32_e32 v36, v31
	v_sub_f32_e32 v46, v52, v30
	v_sub_f32_e32 v47, v53, v32
	v_mov_b32_e32 v39, v45
	v_add_f32_e32 v55, v37, v55
	v_mov_b32_e32 v37, v43
	v_fmac_f32_e32 v38, 0xbf737871, v40
	v_fmac_f32_e32 v36, 0x3f737871, v41
	;; [unrolled: 1-line block ×12, first 2 shown]
	ds_write2_b64 v89, v[73:74], v[69:70] offset1:66
	ds_write2_b64 v89, v[71:72], v[34:35] offset0:132 offset1:198
	ds_write_b64 v89, v[67:68] offset:2112
	s_and_saveexec_b64 s[16:17], s[4:5]
	s_cbranch_execz .LBB0_15
; %bb.14:
	v_add_f32_e32 v28, v28, v52
	v_add_f32_e32 v28, v28, v53
	v_mul_f32_e32 v68, 0x3f167918, v47
	v_mul_f32_e32 v47, 0x3f737871, v47
	v_add_f32_e32 v28, v28, v32
	v_mul_f32_e32 v34, 0x3f737871, v46
	v_mul_f32_e32 v46, 0x3f167918, v46
	v_add_f32_e32 v28, v28, v30
	v_add_f32_e32 v30, v47, v43
	v_mul_f32_e32 v67, 0x3f167918, v41
	v_mul_f32_e32 v41, 0x3f737871, v41
	;; [unrolled: 1-line block ×3, first 2 shown]
	v_sub_f32_e32 v30, v30, v46
	v_mul_f32_e32 v35, 0x3f737871, v40
	v_mul_f32_e32 v40, 0x3f167918, v40
	v_add_f32_e32 v29, v29, v48
	v_add_f32_e32 v32, v55, v30
	v_sub_f32_e32 v30, v31, v41
	v_mul_f32_e32 v44, 0x3e9e377a, v44
	v_sub_f32_e32 v34, v45, v34
	v_add_f32_e32 v33, v33, v35
	v_add_f32_e32 v29, v29, v49
	;; [unrolled: 1-line block ×3, first 2 shown]
	v_mul_f32_e32 v42, 0x3e9e377a, v42
	v_mul_f32_e32 v54, 0x3e9e377a, v54
	v_sub_f32_e32 v34, v34, v68
	v_add_f32_e32 v33, v67, v33
	v_add_f32_e32 v29, v29, v50
	;; [unrolled: 1-line block ×3, first 2 shown]
	v_mad_legacy_u16 v30, v79, s18, v80
	v_add_f32_e32 v34, v54, v34
	v_add_f32_e32 v33, v42, v33
	;; [unrolled: 1-line block ×3, first 2 shown]
	v_lshlrev_b32_e32 v30, 3, v30
	ds_write2_b64 v30, v[28:29], v[33:34] offset1:66
	ds_write2_b64 v30, v[31:32], v[36:37] offset0:132 offset1:198
	ds_write_b64 v30, v[38:39] offset:2112
.LBB0_15:
	s_or_b64 exec, exec, s[16:17]
	v_mad_u64_u32 v[40:41], s[14:15], v76, 24, s[14:15]
	s_movk_i32 s15, 0x1000
	s_movk_i32 s14, 0x1970
	v_add_co_u32_e32 v32, vcc, s15, v40
	v_addc_co_u32_e32 v33, vcc, 0, v41, vcc
	s_waitcnt lgkmcnt(0)
	s_barrier
	global_load_dwordx4 v[28:31], v[40:41], off offset:2552
	global_load_dwordx2 v[67:68], v[40:41], off offset:2568
	v_add_co_u32_e32 v40, vcc, s14, v40
	v_addc_co_u32_e32 v41, vcc, 0, v41, vcc
	global_load_dwordx4 v[32:35], v[32:33], off offset:2416
	v_add_u32_e32 v90, 0x800, v77
	global_load_dwordx2 v[69:70], v[40:41], off offset:16
	v_add_u32_e32 v91, 0x1400, v77
	v_add_u32_e32 v92, 0x1e00, v77
	ds_read2_b64 v[40:43], v90 offset0:74 offset1:239
	ds_read2_b64 v[50:53], v91 offset0:20 offset1:185
	;; [unrolled: 1-line block ×3, first 2 shown]
	ds_read2_b64 v[46:49], v77 offset1:165
	s_waitcnt vmcnt(3) lgkmcnt(3)
	v_mul_f32_e32 v44, v41, v29
	v_mul_f32_e32 v45, v40, v29
	s_waitcnt lgkmcnt(2)
	v_mul_f32_e32 v54, v51, v31
	v_mul_f32_e32 v55, v50, v31
	s_waitcnt vmcnt(2) lgkmcnt(1)
	v_mul_f32_e32 v93, v72, v68
	v_mul_f32_e32 v94, v71, v68
	v_fma_f32 v40, v40, v28, -v44
	v_fmac_f32_e32 v45, v41, v28
	v_fma_f32 v41, v50, v30, -v54
	v_fmac_f32_e32 v55, v51, v30
	;; [unrolled: 2-line block ×3, first 2 shown]
	s_waitcnt vmcnt(1)
	v_mul_f32_e32 v50, v43, v33
	v_mul_f32_e32 v51, v42, v33
	;; [unrolled: 1-line block ×4, first 2 shown]
	s_waitcnt vmcnt(0)
	v_mul_f32_e32 v72, v74, v70
	v_mul_f32_e32 v93, v73, v70
	v_fma_f32 v50, v42, v32, -v50
	v_fmac_f32_e32 v51, v43, v32
	v_fma_f32 v42, v52, v34, -v54
	v_fmac_f32_e32 v71, v53, v34
	;; [unrolled: 2-line block ×3, first 2 shown]
	s_waitcnt lgkmcnt(0)
	v_sub_f32_e32 v41, v46, v41
	v_sub_f32_e32 v53, v45, v94
	;; [unrolled: 1-line block ×4, first 2 shown]
	v_fma_f32 v72, v46, 2.0, -v41
	v_fma_f32 v45, v45, 2.0, -v53
	v_sub_f32_e32 v46, v41, v53
	v_sub_f32_e32 v74, v48, v42
	;; [unrolled: 1-line block ×5, first 2 shown]
	v_fma_f32 v73, v47, 2.0, -v52
	v_fma_f32 v40, v40, 2.0, -v44
	v_add_f32_e32 v47, v52, v44
	v_fma_f32 v48, v48, 2.0, -v74
	v_fma_f32 v49, v49, 2.0, -v71
	;; [unrolled: 1-line block ×4, first 2 shown]
	v_sub_f32_e32 v44, v72, v40
	v_sub_f32_e32 v45, v73, v45
	v_fma_f32 v43, v52, 2.0, -v47
	v_sub_f32_e32 v54, v74, v54
	v_add_f32_e32 v55, v71, v53
	v_sub_f32_e32 v52, v48, v50
	v_sub_f32_e32 v53, v49, v51
	v_fma_f32 v42, v41, 2.0, -v46
	v_fma_f32 v40, v72, 2.0, -v44
	;; [unrolled: 1-line block ×7, first 2 shown]
	ds_write2_b64 v92, v[46:47], v[54:55] offset0:30 offset1:195
	ds_write2_b64 v90, v[42:43], v[50:51] offset0:74 offset1:239
	ds_write2_b64 v91, v[44:45], v[52:53] offset0:20 offset1:185
	ds_write2_b64 v77, v[40:41], v[48:49] offset1:165
	s_waitcnt lgkmcnt(0)
	s_barrier
	s_and_saveexec_b64 s[14:15], s[0:1]
	s_cbranch_execz .LBB0_17
; %bb.16:
	v_add_co_u32_e32 v96, vcc, s12, v75
	v_mov_b32_e32 v71, s13
	v_addc_co_u32_e32 v97, vcc, 0, v71, vcc
	v_add_co_u32_e32 v90, vcc, 0x2940, v96
	v_addc_co_u32_e32 v91, vcc, 0, v97, vcc
	v_add_co_u32_e32 v73, vcc, 0x2000, v96
	v_addc_co_u32_e32 v74, vcc, 0, v97, vcc
	global_load_dwordx2 v[73:74], v[73:74], off offset:2368
	ds_read_b64 v[71:72], v77
	v_add_u32_e32 v98, 0x800, v75
	s_movk_i32 s16, 0x3000
	s_waitcnt vmcnt(0) lgkmcnt(0)
	v_mul_f32_e32 v92, v72, v74
	v_mul_f32_e32 v93, v71, v74
	v_fma_f32 v92, v71, v73, -v92
	v_fmac_f32_e32 v93, v72, v73
	ds_write_b64 v77, v[92:93]
	global_load_dwordx2 v[92:93], v[90:91], off offset:960
	ds_read2_b64 v[71:74], v75 offset0:120 offset1:240
	s_waitcnt vmcnt(0) lgkmcnt(0)
	v_mul_f32_e32 v94, v72, v93
	v_mul_f32_e32 v95, v71, v93
	v_fma_f32 v94, v71, v92, -v94
	v_fmac_f32_e32 v95, v72, v92
	global_load_dwordx2 v[71:72], v[90:91], off offset:1920
	s_waitcnt vmcnt(0)
	v_mul_f32_e32 v92, v74, v72
	v_mul_f32_e32 v93, v73, v72
	v_fma_f32 v92, v73, v71, -v92
	v_fmac_f32_e32 v93, v74, v71
	ds_write2_b64 v75, v[94:95], v[92:93] offset0:120 offset1:240
	global_load_dwordx2 v[92:93], v[90:91], off offset:2880
	ds_read2_b64 v[71:74], v98 offset0:104 offset1:224
	s_waitcnt vmcnt(0) lgkmcnt(0)
	v_mul_f32_e32 v94, v72, v93
	v_mul_f32_e32 v95, v71, v93
	v_fma_f32 v94, v71, v92, -v94
	v_fmac_f32_e32 v95, v72, v92
	global_load_dwordx2 v[71:72], v[90:91], off offset:3840
	s_waitcnt vmcnt(0)
	v_mul_f32_e32 v90, v74, v72
	v_mul_f32_e32 v91, v73, v72
	v_fma_f32 v90, v73, v71, -v90
	v_fmac_f32_e32 v91, v74, v71
	ds_write2_b64 v98, v[94:95], v[90:91] offset0:104 offset1:224
	v_add_co_u32_e32 v90, vcc, s16, v96
	v_addc_co_u32_e32 v91, vcc, 0, v97, vcc
	global_load_dwordx2 v[92:93], v[90:91], off offset:3072
	v_add_u32_e32 v98, 0x1000, v75
	ds_read2_b64 v[71:74], v98 offset0:88 offset1:208
	s_movk_i32 s16, 0x4000
	s_waitcnt vmcnt(0) lgkmcnt(0)
	v_mul_f32_e32 v94, v72, v93
	v_mul_f32_e32 v95, v71, v93
	v_fma_f32 v94, v71, v92, -v94
	v_fmac_f32_e32 v95, v72, v92
	global_load_dwordx2 v[71:72], v[90:91], off offset:4032
	s_waitcnt vmcnt(0)
	v_mul_f32_e32 v90, v74, v72
	v_mul_f32_e32 v91, v73, v72
	v_fma_f32 v90, v73, v71, -v90
	v_fmac_f32_e32 v91, v74, v71
	ds_write2_b64 v98, v[94:95], v[90:91] offset0:88 offset1:208
	v_add_co_u32_e32 v90, vcc, s16, v96
	v_addc_co_u32_e32 v91, vcc, 0, v97, vcc
	global_load_dwordx2 v[92:93], v[90:91], off offset:896
	v_add_u32_e32 v98, 0x1800, v75
	ds_read2_b64 v[71:74], v98 offset0:72 offset1:192
	v_add_u32_e32 v96, 0x2000, v75
	s_waitcnt vmcnt(0) lgkmcnt(0)
	v_mul_f32_e32 v94, v72, v93
	v_mul_f32_e32 v95, v71, v93
	v_fma_f32 v94, v71, v92, -v94
	v_fmac_f32_e32 v95, v72, v92
	global_load_dwordx2 v[71:72], v[90:91], off offset:1856
	s_waitcnt vmcnt(0)
	v_mul_f32_e32 v92, v74, v72
	v_mul_f32_e32 v93, v73, v72
	v_fma_f32 v92, v73, v71, -v92
	v_fmac_f32_e32 v93, v74, v71
	ds_write2_b64 v98, v[94:95], v[92:93] offset0:72 offset1:192
	global_load_dwordx2 v[92:93], v[90:91], off offset:2816
	ds_read2_b64 v[71:74], v96 offset0:56 offset1:176
	s_waitcnt vmcnt(0) lgkmcnt(0)
	v_mul_f32_e32 v94, v72, v93
	v_mul_f32_e32 v95, v71, v93
	v_fma_f32 v94, v71, v92, -v94
	v_fmac_f32_e32 v95, v72, v92
	global_load_dwordx2 v[71:72], v[90:91], off offset:3776
	s_waitcnt vmcnt(0)
	v_mul_f32_e32 v90, v74, v72
	v_mul_f32_e32 v91, v73, v72
	v_fma_f32 v90, v73, v71, -v90
	v_fmac_f32_e32 v91, v74, v71
	ds_write2_b64 v96, v[94:95], v[90:91] offset0:56 offset1:176
.LBB0_17:
	s_or_b64 exec, exec, s[14:15]
	s_waitcnt lgkmcnt(0)
	s_barrier
	s_and_saveexec_b64 s[14:15], s[0:1]
	s_cbranch_execz .LBB0_19
; %bb.18:
	v_add_u32_e32 v36, 0x400, v77
	ds_read2_b64 v[44:47], v36 offset0:112 offset1:232
	v_add_u32_e32 v36, 0xc00, v77
	ds_read2_b64 v[48:51], v36 offset0:96 offset1:216
	;; [unrolled: 2-line block ×3, first 2 shown]
	v_add_u32_e32 v36, 0x1c00, v77
	ds_read2_b64 v[40:43], v77 offset1:120
	ds_read2_b64 v[36:39], v36 offset0:64 offset1:184
	ds_read_b64 v[57:58], v77 offset:9600
.LBB0_19:
	s_or_b64 exec, exec, s[14:15]
	s_waitcnt lgkmcnt(0)
	v_sub_f32_e32 v100, v43, v58
	v_add_f32_e32 v90, v57, v42
	v_add_f32_e32 v102, v58, v43
	s_mov_b32 s16, 0x3ed4b147
	v_mul_f32_e32 v103, 0xbf68dda4, v100
	v_sub_f32_e32 v101, v45, v39
	v_mul_f32_e32 v106, 0x3ed4b147, v102
	v_fma_f32 v71, v90, s16, -v103
	v_add_f32_e32 v92, v38, v44
	v_add_f32_e32 v105, v39, v45
	s_mov_b32 s18, 0xbf27a4f4
	v_mul_f32_e32 v108, 0xbf4178ce, v101
	v_sub_f32_e32 v91, v42, v57
	v_add_f32_e32 v71, v40, v71
	v_mov_b32_e32 v72, v106
	v_mul_f32_e32 v111, 0xbf27a4f4, v105
	v_fma_f32 v94, v92, s18, -v108
	v_fmac_f32_e32 v72, 0xbf68dda4, v91
	s_mov_b32 s17, 0xbe11bafb
	v_mul_f32_e32 v110, 0xbf7d64f0, v100
	v_sub_f32_e32 v93, v44, v38
	v_add_f32_e32 v71, v94, v71
	v_mov_b32_e32 v94, v111
	v_add_f32_e32 v72, v41, v72
	v_mul_f32_e32 v115, 0xbe11bafb, v102
	v_fma_f32 v73, v90, s17, -v110
	v_fmac_f32_e32 v94, 0xbf4178ce, v93
	s_mov_b32 s19, 0xbf75a155
	v_mul_f32_e32 v116, 0x3e903f40, v101
	v_add_f32_e32 v73, v40, v73
	v_mov_b32_e32 v74, v115
	v_add_f32_e32 v72, v94, v72
	v_mul_f32_e32 v120, 0xbf75a155, v105
	v_fma_f32 v94, v92, s19, -v116
	v_fmac_f32_e32 v74, 0xbf7d64f0, v91
	v_add_f32_e32 v73, v94, v73
	v_mov_b32_e32 v94, v120
	v_add_f32_e32 v74, v41, v74
	v_fmac_f32_e32 v94, 0x3e903f40, v93
	v_sub_f32_e32 v104, v47, v37
	v_add_f32_e32 v74, v94, v74
	v_add_f32_e32 v94, v36, v46
	v_add_f32_e32 v109, v37, v47
	v_mul_f32_e32 v114, 0x3e903f40, v104
	v_mul_f32_e32 v117, 0xbf75a155, v109
	v_fma_f32 v96, v94, s19, -v114
	v_sub_f32_e32 v95, v46, v36
	v_add_f32_e32 v71, v96, v71
	v_mov_b32_e32 v96, v117
	v_fmac_f32_e32 v96, 0x3e903f40, v95
	v_mul_f32_e32 v121, 0x3f68dda4, v104
	v_add_f32_e32 v72, v96, v72
	v_mul_f32_e32 v124, 0x3ed4b147, v109
	v_fma_f32 v96, v94, s16, -v121
	v_add_f32_e32 v73, v96, v73
	v_mov_b32_e32 v96, v124
	v_fmac_f32_e32 v96, 0x3f68dda4, v95
	v_sub_f32_e32 v107, v49, v55
	v_add_f32_e32 v74, v96, v74
	v_add_f32_e32 v96, v54, v48
	;; [unrolled: 1-line block ×3, first 2 shown]
	v_mul_f32_e32 v119, 0x3f7d64f0, v107
	v_mul_f32_e32 v122, 0xbe11bafb, v113
	v_fma_f32 v98, v96, s17, -v119
	v_sub_f32_e32 v97, v48, v54
	v_add_f32_e32 v71, v98, v71
	v_mov_b32_e32 v98, v122
	v_fmac_f32_e32 v98, 0x3f7d64f0, v97
	s_mov_b32 s20, 0x3f575c64
	v_mul_f32_e32 v125, 0xbf0a6770, v107
	v_add_f32_e32 v72, v98, v72
	v_mul_f32_e32 v127, 0x3f575c64, v113
	v_fma_f32 v98, v96, s20, -v125
	v_add_f32_e32 v73, v98, v73
	v_mov_b32_e32 v98, v127
	v_fmac_f32_e32 v98, 0xbf0a6770, v97
	v_sub_f32_e32 v112, v51, v53
	v_add_f32_e32 v74, v98, v74
	v_add_f32_e32 v98, v52, v50
	;; [unrolled: 1-line block ×3, first 2 shown]
	v_mul_f32_e32 v123, 0x3f0a6770, v112
	v_mul_f32_e32 v126, 0x3f575c64, v118
	v_fma_f32 v128, v98, s20, -v123
	v_sub_f32_e32 v99, v50, v52
	v_add_f32_e32 v71, v128, v71
	v_mov_b32_e32 v128, v126
	v_fmac_f32_e32 v128, 0x3f0a6770, v99
	v_add_f32_e32 v72, v128, v72
	v_mul_f32_e32 v128, 0xbf4178ce, v112
	v_mul_f32_e32 v129, 0xbf27a4f4, v118
	v_fma_f32 v130, v98, s18, -v128
	v_add_f32_e32 v73, v130, v73
	v_mov_b32_e32 v130, v129
	v_fmac_f32_e32 v130, 0xbf4178ce, v99
	v_add_f32_e32 v74, v130, v74
	s_barrier
	s_and_saveexec_b64 s[14:15], s[0:1]
	s_cbranch_execz .LBB0_21
; %bb.20:
	v_mul_f32_e32 v139, 0xbf7d64f0, v91
	v_mul_f32_e32 v143, 0x3e903f40, v93
	v_sub_f32_e32 v115, v115, v139
	v_mul_f32_e32 v147, 0x3f68dda4, v95
	v_add_f32_e32 v115, v41, v115
	v_sub_f32_e32 v120, v120, v143
	v_mul_f32_e32 v151, 0xbf0a6770, v97
	v_add_f32_e32 v115, v120, v115
	v_sub_f32_e32 v120, v124, v147
	v_mul_f32_e32 v138, 0xbe11bafb, v90
	v_mul_f32_e32 v155, 0xbf4178ce, v99
	;; [unrolled: 1-line block ×3, first 2 shown]
	v_add_f32_e32 v115, v120, v115
	v_sub_f32_e32 v120, v127, v151
	v_mul_f32_e32 v142, 0xbf75a155, v92
	v_mov_b32_e32 v130, v132
	v_mul_f32_e32 v133, 0x3f0a6770, v93
	v_add_f32_e32 v115, v120, v115
	v_sub_f32_e32 v120, v129, v155
	v_add_f32_e32 v110, v138, v110
	v_mul_f32_e32 v146, 0x3ed4b147, v94
	v_fmac_f32_e32 v130, 0xbf75a155, v102
	v_mov_b32_e32 v131, v133
	v_add_f32_e32 v129, v120, v115
	v_add_f32_e32 v110, v40, v110
	;; [unrolled: 1-line block ×3, first 2 shown]
	v_mul_f32_e32 v150, 0x3f575c64, v96
	v_add_f32_e32 v130, v41, v130
	v_fmac_f32_e32 v131, 0x3f575c64, v105
	v_mul_f32_e32 v134, 0xbf4178ce, v95
	v_add_f32_e32 v110, v115, v110
	v_add_f32_e32 v115, v146, v121
	v_mul_f32_e32 v137, 0xbf68dda4, v91
	v_mul_f32_e32 v154, 0xbf27a4f4, v98
	v_add_f32_e32 v130, v131, v130
	v_mov_b32_e32 v131, v134
	v_add_f32_e32 v110, v115, v110
	v_add_f32_e32 v115, v150, v125
	v_mul_f32_e32 v141, 0xbf4178ce, v93
	v_fmac_f32_e32 v131, 0xbf27a4f4, v109
	v_mul_f32_e32 v135, 0x3f68dda4, v97
	v_add_f32_e32 v110, v115, v110
	v_add_f32_e32 v115, v154, v128
	v_sub_f32_e32 v106, v106, v137
	v_mul_f32_e32 v145, 0x3e903f40, v95
	v_add_f32_e32 v130, v131, v130
	v_mov_b32_e32 v131, v135
	v_fma_f32 v132, v102, s19, -v132
	v_add_f32_e32 v128, v115, v110
	v_add_f32_e32 v106, v41, v106
	v_sub_f32_e32 v110, v111, v141
	v_add_f32_e32 v43, v43, v41
	v_mul_f32_e32 v149, 0x3f7d64f0, v97
	v_fmac_f32_e32 v131, 0x3ed4b147, v113
	v_mul_f32_e32 v156, 0xbf7d64f0, v99
	v_add_f32_e32 v132, v41, v132
	v_fma_f32 v133, v105, s20, -v133
	v_add_f32_e32 v106, v110, v106
	v_sub_f32_e32 v110, v117, v145
	v_add_f32_e32 v43, v45, v43
	v_mul_f32_e32 v136, 0x3ed4b147, v90
	v_mul_f32_e32 v153, 0x3f0a6770, v99
	v_add_f32_e32 v130, v131, v130
	v_mov_b32_e32 v131, v156
	v_add_f32_e32 v132, v133, v132
	v_fma_f32 v133, v109, s18, -v134
	v_add_f32_e32 v106, v110, v106
	v_sub_f32_e32 v110, v122, v149
	v_add_f32_e32 v43, v47, v43
	v_mul_f32_e32 v140, 0xbf27a4f4, v92
	v_fmac_f32_e32 v131, 0xbe11bafb, v118
	v_mul_f32_e32 v157, 0xbe903f40, v100
	v_add_f32_e32 v132, v133, v132
	v_fma_f32 v133, v113, s16, -v135
	v_add_f32_e32 v106, v110, v106
	v_sub_f32_e32 v110, v126, v153
	v_add_f32_e32 v103, v136, v103
	v_add_f32_e32 v43, v49, v43
	v_mul_f32_e32 v144, 0xbf75a155, v94
	v_add_f32_e32 v131, v131, v130
	v_fma_f32 v130, v90, s19, -v157
	v_add_f32_e32 v132, v133, v132
	v_fma_f32 v133, v118, s17, -v156
	v_fmac_f32_e32 v157, 0xbf75a155, v90
	v_mul_f32_e32 v156, 0xbf27a4f4, v102
	v_add_f32_e32 v111, v110, v106
	v_add_f32_e32 v103, v40, v103
	;; [unrolled: 1-line block ×4, first 2 shown]
	v_mul_f32_e32 v148, 0xbe11bafb, v96
	v_mul_f32_e32 v158, 0x3f0a6770, v101
	v_add_f32_e32 v133, v133, v132
	v_add_f32_e32 v132, v40, v157
	v_mov_b32_e32 v134, v156
	v_mul_f32_e32 v157, 0xbe11bafb, v105
	v_add_f32_e32 v103, v106, v103
	v_add_f32_e32 v106, v144, v114
	v_add_f32_e32 v43, v53, v43
	v_mul_f32_e32 v152, 0x3f575c64, v98
	v_add_f32_e32 v130, v40, v130
	v_fma_f32 v159, v92, s20, -v158
	v_fmac_f32_e32 v158, 0x3f575c64, v92
	v_fmac_f32_e32 v134, 0x3f4178ce, v91
	v_mov_b32_e32 v135, v157
	v_add_f32_e32 v103, v106, v103
	v_add_f32_e32 v106, v148, v119
	;; [unrolled: 1-line block ×4, first 2 shown]
	v_mul_f32_e32 v159, 0xbf4178ce, v104
	v_add_f32_e32 v132, v158, v132
	v_add_f32_e32 v134, v41, v134
	v_fmac_f32_e32 v135, 0xbf7d64f0, v93
	v_mul_f32_e32 v158, 0x3f575c64, v109
	v_add_f32_e32 v103, v106, v103
	v_add_f32_e32 v106, v152, v123
	;; [unrolled: 1-line block ×3, first 2 shown]
	v_fma_f32 v160, v94, s18, -v159
	v_fmac_f32_e32 v159, 0xbf27a4f4, v94
	v_add_f32_e32 v134, v135, v134
	v_mov_b32_e32 v135, v158
	v_add_f32_e32 v110, v106, v103
	v_mul_f32_e32 v103, 0x3f575c64, v102
	v_add_f32_e32 v37, v39, v37
	v_add_f32_e32 v39, v42, v40
	;; [unrolled: 1-line block ×3, first 2 shown]
	v_mul_f32_e32 v160, 0x3f68dda4, v107
	v_add_f32_e32 v132, v159, v132
	v_fmac_f32_e32 v135, 0x3f0a6770, v95
	v_mul_f32_e32 v159, 0xbf75a155, v113
	v_mov_b32_e32 v102, v103
	v_mul_f32_e32 v105, 0x3ed4b147, v105
	v_add_f32_e32 v39, v44, v39
	v_fma_f32 v161, v96, s16, -v160
	v_fmac_f32_e32 v160, 0x3ed4b147, v96
	v_add_f32_e32 v134, v135, v134
	v_mov_b32_e32 v135, v159
	v_fmac_f32_e32 v102, 0x3f0a6770, v91
	v_mov_b32_e32 v106, v105
	v_add_f32_e32 v39, v46, v39
	v_add_f32_e32 v130, v161, v130
	v_mul_f32_e32 v161, 0xbf7d64f0, v112
	v_add_f32_e32 v132, v160, v132
	v_fmac_f32_e32 v135, 0x3e903f40, v97
	v_mul_f32_e32 v160, 0x3ed4b147, v118
	v_add_f32_e32 v102, v41, v102
	v_fmac_f32_e32 v106, 0x3f68dda4, v93
	v_add_f32_e32 v39, v48, v39
	v_fma_f32 v162, v98, s17, -v161
	v_fmac_f32_e32 v161, 0xbe11bafb, v98
	v_add_f32_e32 v134, v135, v134
	v_mov_b32_e32 v135, v160
	v_add_f32_e32 v102, v106, v102
	v_mul_f32_e32 v106, 0xbe11bafb, v109
	v_add_f32_e32 v39, v50, v39
	v_add_f32_e32 v132, v161, v132
	v_fmac_f32_e32 v135, 0xbf68dda4, v99
	v_mul_f32_e32 v161, 0xbf4178ce, v100
	v_mov_b32_e32 v108, v106
	v_add_f32_e32 v39, v52, v39
	v_add_f32_e32 v130, v162, v130
	;; [unrolled: 1-line block ×3, first 2 shown]
	v_mov_b32_e32 v134, v161
	v_mul_f32_e32 v162, 0x3f7d64f0, v101
	v_fmac_f32_e32 v108, 0x3f7d64f0, v95
	v_add_f32_e32 v39, v54, v39
	v_fmac_f32_e32 v134, 0xbf27a4f4, v90
	v_mov_b32_e32 v163, v162
	v_add_f32_e32 v102, v108, v102
	v_mul_f32_e32 v108, 0xbf27a4f4, v113
	v_add_f32_e32 v36, v36, v39
	v_fmac_f32_e32 v156, 0xbf4178ce, v91
	v_add_f32_e32 v134, v40, v134
	v_fmac_f32_e32 v163, 0xbe11bafb, v92
	v_mov_b32_e32 v109, v108
	v_add_f32_e32 v36, v38, v36
	v_add_f32_e32 v38, v41, v156
	v_fmac_f32_e32 v157, 0x3f7d64f0, v93
	v_add_f32_e32 v134, v163, v134
	v_mul_f32_e32 v163, 0xbf0a6770, v104
	v_fmac_f32_e32 v109, 0x3f4178ce, v97
	v_add_f32_e32 v38, v157, v38
	v_fmac_f32_e32 v158, 0xbf0a6770, v95
	v_mov_b32_e32 v164, v163
	v_add_f32_e32 v102, v109, v102
	v_mul_f32_e32 v109, 0xbf75a155, v118
	v_add_f32_e32 v38, v158, v38
	v_fmac_f32_e32 v159, 0xbe903f40, v97
	v_fmac_f32_e32 v164, 0x3f575c64, v94
	v_mov_b32_e32 v113, v109
	v_add_f32_e32 v38, v159, v38
	v_fmac_f32_e32 v160, 0x3f68dda4, v99
	v_add_f32_e32 v134, v164, v134
	v_mul_f32_e32 v164, 0xbe903f40, v107
	v_fmac_f32_e32 v113, 0x3e903f40, v99
	v_mul_f32_e32 v100, 0xbf0a6770, v100
	v_add_f32_e32 v39, v160, v38
	v_fma_f32 v38, v90, s18, -v161
	v_mov_b32_e32 v165, v164
	v_add_f32_e32 v102, v113, v102
	v_mov_b32_e32 v113, v100
	v_mul_f32_e32 v114, 0xbf68dda4, v101
	v_add_f32_e32 v38, v40, v38
	v_fma_f32 v42, v92, s17, -v162
	v_fmac_f32_e32 v165, 0xbf75a155, v96
	v_fmac_f32_e32 v113, 0x3f575c64, v90
	v_mov_b32_e32 v101, v114
	v_add_f32_e32 v38, v42, v38
	v_fma_f32 v42, v94, s20, -v163
	v_add_f32_e32 v134, v165, v134
	v_mul_f32_e32 v165, 0x3f68dda4, v112
	v_add_f32_e32 v113, v40, v113
	v_fmac_f32_e32 v101, 0x3ed4b147, v92
	v_mul_f32_e32 v104, 0xbf7d64f0, v104
	v_add_f32_e32 v38, v42, v38
	v_fma_f32 v42, v96, s19, -v164
	v_add_f32_e32 v101, v101, v113
	v_mov_b32_e32 v113, v104
	v_add_f32_e32 v38, v42, v38
	v_fma_f32 v42, v98, s16, -v165
	v_fmac_f32_e32 v113, 0xbe11bafb, v94
	v_mul_f32_e32 v107, 0xbf4178ce, v107
	v_add_f32_e32 v38, v42, v38
	v_fma_f32 v42, v90, s20, -v100
	v_add_f32_e32 v101, v113, v101
	v_mov_b32_e32 v113, v107
	v_fmac_f32_e32 v103, 0xbf0a6770, v91
	v_add_f32_e32 v40, v40, v42
	v_fma_f32 v42, v92, s16, -v114
	v_fmac_f32_e32 v113, 0xbf27a4f4, v96
	v_mul_f32_e32 v112, 0xbe903f40, v112
	v_add_f32_e32 v41, v41, v103
	v_fmac_f32_e32 v105, 0xbf68dda4, v93
	v_add_f32_e32 v40, v42, v40
	v_fma_f32 v42, v94, s17, -v104
	v_add_f32_e32 v101, v113, v101
	v_mov_b32_e32 v113, v112
	v_add_f32_e32 v41, v105, v41
	v_fmac_f32_e32 v106, 0xbf7d64f0, v95
	v_add_f32_e32 v40, v42, v40
	v_fma_f32 v42, v96, s18, -v107
	v_mov_b32_e32 v166, v165
	v_fmac_f32_e32 v113, 0xbf75a155, v98
	v_add_f32_e32 v41, v106, v41
	v_fmac_f32_e32 v108, 0xbf4178ce, v97
	v_add_f32_e32 v40, v42, v40
	v_fma_f32 v42, v98, s19, -v112
	v_fmac_f32_e32 v166, 0x3ed4b147, v98
	v_add_f32_e32 v101, v113, v101
	v_add_f32_e32 v37, v58, v37
	v_add_f32_e32 v36, v57, v36
	v_add_f32_e32 v41, v108, v41
	v_fmac_f32_e32 v109, 0xbe903f40, v99
	v_add_f32_e32 v40, v42, v40
	v_lshlrev_b32_e32 v42, 3, v78
	v_add_f32_e32 v134, v166, v134
	v_add_f32_e32 v41, v109, v41
	ds_write2_b64 v42, v[36:37], v[101:102] offset1:1
	ds_write2_b64 v42, v[110:111], v[128:129] offset0:2 offset1:3
	ds_write2_b64 v42, v[134:135], v[132:133] offset0:4 offset1:5
	;; [unrolled: 1-line block ×4, first 2 shown]
	ds_write_b64 v42, v[40:41] offset:80
.LBB0_21:
	s_or_b64 exec, exec, s[14:15]
	v_add_u32_e32 v40, 0x1400, v77
	s_waitcnt lgkmcnt(0)
	s_barrier
	ds_read2_b64 v[40:43], v40 offset0:20 offset1:185
	v_add_u32_e32 v48, 0x1e00, v77
	ds_read2_b64 v[48:51], v48 offset0:30 offset1:195
	ds_read2_b64 v[36:39], v77 offset1:165
	v_add_u32_e32 v44, 0x800, v77
	s_waitcnt lgkmcnt(2)
	v_mul_f32_e32 v52, v66, v41
	ds_read2_b64 v[44:47], v44 offset0:74 offset1:239
	v_fmac_f32_e32 v52, v65, v40
	v_mul_f32_e32 v40, v66, v40
	v_fma_f32 v41, v65, v41, -v40
	v_mul_f32_e32 v40, v64, v42
	v_mul_f32_e32 v53, v64, v43
	v_fma_f32 v43, v63, v43, -v40
	s_waitcnt lgkmcnt(2)
	v_mul_f32_e32 v54, v62, v49
	v_mul_f32_e32 v40, v62, v48
	v_fmac_f32_e32 v54, v61, v48
	v_fma_f32 v48, v61, v49, -v40
	v_mul_f32_e32 v49, v60, v51
	v_mul_f32_e32 v40, v60, v50
	v_fmac_f32_e32 v53, v63, v42
	v_fmac_f32_e32 v49, v59, v50
	v_fma_f32 v51, v59, v51, -v40
	s_waitcnt lgkmcnt(1)
	v_sub_f32_e32 v40, v36, v52
	v_sub_f32_e32 v41, v37, v41
	v_fma_f32 v36, v36, 2.0, -v40
	v_fma_f32 v37, v37, 2.0, -v41
	v_sub_f32_e32 v42, v38, v53
	v_sub_f32_e32 v43, v39, v43
	s_waitcnt lgkmcnt(0)
	v_sub_f32_e32 v52, v44, v54
	v_sub_f32_e32 v53, v45, v48
	;; [unrolled: 1-line block ×4, first 2 shown]
	v_fma_f32 v38, v38, 2.0, -v42
	v_fma_f32 v39, v39, 2.0, -v43
	v_fma_f32 v44, v44, 2.0, -v52
	v_fma_f32 v45, v45, 2.0, -v53
	v_fma_f32 v48, v46, 2.0, -v50
	v_fma_f32 v49, v47, 2.0, -v51
	s_barrier
	ds_write2_b64 v86, v[36:37], v[40:41] offset1:11
	ds_write2_b64 v85, v[38:39], v[42:43] offset1:11
	;; [unrolled: 1-line block ×4, first 2 shown]
	v_add_u32_e32 v40, 0xc00, v77
	s_waitcnt lgkmcnt(0)
	s_barrier
	ds_read2_b64 v[44:47], v40 offset0:56 offset1:221
	v_add_u32_e32 v40, 0x1a00, v77
	ds_read2_b64 v[36:39], v77 offset1:165
	ds_read2_b64 v[40:43], v40 offset0:48 offset1:213
	s_and_saveexec_b64 s[14:15], s[2:3]
	s_cbranch_execz .LBB0_23
; %bb.22:
	ds_read_b64 v[48:49], v77 offset:2640
	ds_read_b64 v[50:51], v77 offset:6160
	;; [unrolled: 1-line block ×3, first 2 shown]
.LBB0_23:
	s_or_b64 exec, exec, s[14:15]
	s_waitcnt lgkmcnt(2)
	v_mul_f32_e32 v52, v17, v45
	v_fmac_f32_e32 v52, v16, v44
	v_mul_f32_e32 v17, v17, v44
	s_waitcnt lgkmcnt(0)
	v_mul_f32_e32 v44, v19, v41
	v_fma_f32 v17, v16, v45, -v17
	v_fmac_f32_e32 v44, v18, v40
	v_mul_f32_e32 v16, v19, v40
	v_mul_f32_e32 v40, v13, v47
	;; [unrolled: 1-line block ×3, first 2 shown]
	v_fma_f32 v18, v18, v41, -v16
	v_fmac_f32_e32 v40, v12, v46
	v_fma_f32 v41, v12, v47, -v13
	v_mul_f32_e32 v45, v15, v43
	v_mul_f32_e32 v12, v15, v42
	v_fmac_f32_e32 v45, v14, v42
	v_fma_f32 v42, v14, v43, -v12
	v_mul_f32_e32 v43, v9, v51
	v_mul_f32_e32 v9, v9, v50
	v_fmac_f32_e32 v43, v8, v50
	v_fma_f32 v46, v8, v51, -v9
	v_mul_f32_e32 v8, v11, v73
	v_mul_f32_e32 v47, v11, v74
	v_fma_f32 v11, v10, v74, -v8
	v_add_f32_e32 v8, v36, v52
	v_add_f32_e32 v12, v8, v44
	v_add_f32_e32 v8, v52, v44
	v_fma_f32 v14, -0.5, v8, v36
	v_sub_f32_e32 v8, v17, v18
	v_mov_b32_e32 v16, v14
	v_fmac_f32_e32 v16, 0xbf5db3d7, v8
	v_fmac_f32_e32 v14, 0x3f5db3d7, v8
	v_add_f32_e32 v8, v37, v17
	v_add_f32_e32 v13, v8, v18
	v_add_f32_e32 v8, v17, v18
	v_fma_f32 v15, -0.5, v8, v37
	v_sub_f32_e32 v8, v52, v44
	v_mov_b32_e32 v17, v15
	v_fmac_f32_e32 v17, 0x3f5db3d7, v8
	v_fmac_f32_e32 v15, 0xbf5db3d7, v8
	;; [unrolled: 8-line block ×3, first 2 shown]
	v_add_f32_e32 v8, v39, v41
	v_add_f32_e32 v19, v8, v42
	;; [unrolled: 1-line block ×3, first 2 shown]
	v_fmac_f32_e32 v47, v10, v73
	v_fmac_f32_e32 v39, -0.5, v8
	v_sub_f32_e32 v8, v40, v45
	v_mov_b32_e32 v37, v39
	v_add_f32_e32 v9, v43, v47
	v_fmac_f32_e32 v37, 0x3f5db3d7, v8
	v_fmac_f32_e32 v39, 0xbf5db3d7, v8
	v_add_f32_e32 v8, v43, v48
	v_fmac_f32_e32 v48, -0.5, v9
	v_sub_f32_e32 v9, v46, v11
	v_mov_b32_e32 v10, v48
	v_fmac_f32_e32 v10, 0xbf5db3d7, v9
	v_fmac_f32_e32 v48, 0x3f5db3d7, v9
	v_add_f32_e32 v9, v46, v49
	v_add_f32_e32 v9, v11, v9
	;; [unrolled: 1-line block ×3, first 2 shown]
	v_fmac_f32_e32 v49, -0.5, v11
	v_sub_f32_e32 v40, v43, v47
	v_mov_b32_e32 v11, v49
	v_add_f32_e32 v8, v8, v47
	v_fmac_f32_e32 v11, 0x3f5db3d7, v40
	v_fmac_f32_e32 v49, 0xbf5db3d7, v40
	s_barrier
	ds_write2_b64 v87, v[12:13], v[16:17] offset1:22
	ds_write_b64 v87, v[14:15] offset:352
	ds_write2_b64 v88, v[18:19], v[36:37] offset1:22
	ds_write_b64 v88, v[38:39] offset:352
	s_and_saveexec_b64 s[14:15], s[2:3]
	s_cbranch_execz .LBB0_25
; %bb.24:
	s_movk_i32 s2, 0x42
	v_mad_legacy_u16 v12, v81, s2, v82
	v_lshlrev_b32_e32 v12, 3, v12
	ds_write2_b64 v12, v[8:9], v[10:11] offset1:22
	ds_write_b64 v12, v[48:49] offset:352
.LBB0_25:
	s_or_b64 exec, exec, s[14:15]
	s_waitcnt lgkmcnt(0)
	s_barrier
	ds_read_b64 v[12:13], v77
	ds_read_b64 v[36:37], v77 offset:2112
	ds_read_b64 v[18:19], v77 offset:4224
	;; [unrolled: 1-line block ×4, first 2 shown]
	s_and_saveexec_b64 s[2:3], s[4:5]
	s_cbranch_execz .LBB0_27
; %bb.26:
	ds_read_b64 v[38:39], v77 offset:1320
	ds_read_b64 v[8:9], v77 offset:3432
	;; [unrolled: 1-line block ×5, first 2 shown]
.LBB0_27:
	s_or_b64 exec, exec, s[2:3]
	s_waitcnt lgkmcnt(3)
	v_mul_f32_e32 v40, v25, v37
	v_mul_f32_e32 v25, v25, v36
	v_fmac_f32_e32 v40, v24, v36
	v_fma_f32 v24, v24, v37, -v25
	s_waitcnt lgkmcnt(2)
	v_mul_f32_e32 v25, v27, v19
	v_fmac_f32_e32 v25, v26, v18
	v_mul_f32_e32 v18, v27, v18
	v_fma_f32 v26, v26, v19, -v18
	s_waitcnt lgkmcnt(1)
	v_mul_f32_e32 v27, v21, v17
	s_waitcnt lgkmcnt(0)
	v_mul_f32_e32 v19, v23, v15
	v_fmac_f32_e32 v27, v20, v16
	v_fmac_f32_e32 v19, v22, v14
	v_mul_f32_e32 v14, v23, v14
	v_mul_f32_e32 v16, v21, v16
	v_fma_f32 v22, v22, v15, -v14
	v_add_f32_e32 v15, v25, v27
	v_fma_f32 v36, v20, v17, -v16
	v_fma_f32 v16, -0.5, v15, v12
	v_sub_f32_e32 v15, v24, v22
	v_mov_b32_e32 v18, v16
	v_fmac_f32_e32 v18, 0xbf737871, v15
	v_sub_f32_e32 v17, v26, v36
	v_sub_f32_e32 v20, v40, v25
	;; [unrolled: 1-line block ×3, first 2 shown]
	v_fmac_f32_e32 v16, 0x3f737871, v15
	v_fmac_f32_e32 v18, 0xbf167918, v17
	v_add_f32_e32 v20, v20, v21
	v_fmac_f32_e32 v16, 0x3f167918, v17
	v_fmac_f32_e32 v18, 0x3e9e377a, v20
	;; [unrolled: 1-line block ×3, first 2 shown]
	v_add_f32_e32 v20, v40, v19
	v_add_f32_e32 v14, v12, v40
	v_fma_f32 v12, -0.5, v20, v12
	v_mov_b32_e32 v20, v12
	v_add_f32_e32 v14, v14, v25
	v_fmac_f32_e32 v20, 0x3f737871, v17
	v_fmac_f32_e32 v12, 0xbf737871, v17
	v_add_f32_e32 v17, v26, v36
	v_add_f32_e32 v14, v14, v27
	v_sub_f32_e32 v21, v25, v40
	v_sub_f32_e32 v23, v27, v19
	v_fma_f32 v17, -0.5, v17, v13
	v_add_f32_e32 v14, v14, v19
	v_fmac_f32_e32 v20, 0xbf167918, v15
	v_add_f32_e32 v21, v21, v23
	v_fmac_f32_e32 v12, 0x3f167918, v15
	v_sub_f32_e32 v23, v40, v19
	v_mov_b32_e32 v19, v17
	v_fmac_f32_e32 v20, 0x3e9e377a, v21
	v_fmac_f32_e32 v12, 0x3e9e377a, v21
	;; [unrolled: 1-line block ×3, first 2 shown]
	v_sub_f32_e32 v25, v25, v27
	v_sub_f32_e32 v21, v24, v26
	;; [unrolled: 1-line block ×3, first 2 shown]
	v_fmac_f32_e32 v17, 0xbf737871, v23
	v_fmac_f32_e32 v19, 0x3f167918, v25
	v_add_f32_e32 v21, v21, v27
	v_fmac_f32_e32 v17, 0xbf167918, v25
	v_add_f32_e32 v15, v13, v24
	v_fmac_f32_e32 v19, 0x3e9e377a, v21
	v_fmac_f32_e32 v17, 0x3e9e377a, v21
	v_add_f32_e32 v21, v24, v22
	v_add_f32_e32 v15, v15, v26
	v_fmac_f32_e32 v13, -0.5, v21
	v_add_f32_e32 v15, v15, v36
	v_mov_b32_e32 v21, v13
	v_add_f32_e32 v15, v15, v22
	v_fmac_f32_e32 v21, 0xbf737871, v25
	v_sub_f32_e32 v24, v26, v24
	v_sub_f32_e32 v22, v36, v22
	v_fmac_f32_e32 v13, 0x3f737871, v25
	v_fmac_f32_e32 v21, 0x3f167918, v23
	v_add_f32_e32 v22, v24, v22
	v_fmac_f32_e32 v13, 0xbf167918, v23
	v_fmac_f32_e32 v21, 0x3e9e377a, v22
	;; [unrolled: 1-line block ×3, first 2 shown]
	s_barrier
	ds_write2_b64 v89, v[14:15], v[18:19] offset1:66
	ds_write2_b64 v89, v[20:21], v[12:13] offset0:132 offset1:198
	ds_write_b64 v89, v[16:17] offset:2112
	s_and_saveexec_b64 s[2:3], s[4:5]
	s_cbranch_execz .LBB0_29
; %bb.28:
	v_mul_f32_e32 v12, v5, v8
	v_mul_f32_e32 v13, v7, v10
	v_fma_f32 v12, v4, v9, -v12
	v_fma_f32 v13, v6, v11, -v13
	v_mul_f32_e32 v15, v3, v71
	v_mul_f32_e32 v16, v1, v48
	;; [unrolled: 1-line block ×4, first 2 shown]
	v_fma_f32 v15, v2, v72, -v15
	v_fma_f32 v16, v0, v49, -v16
	v_fmac_f32_e32 v11, v6, v10
	v_mul_f32_e32 v6, v1, v49
	v_fmac_f32_e32 v9, v4, v8
	v_add_f32_e32 v4, v12, v39
	v_sub_f32_e32 v14, v12, v13
	v_fmac_f32_e32 v6, v0, v48
	v_mul_f32_e32 v8, v3, v72
	v_add_f32_e32 v0, v13, v16
	v_sub_f32_e32 v20, v13, v16
	v_add_f32_e32 v4, v13, v4
	v_sub_f32_e32 v7, v13, v12
	v_sub_f32_e32 v13, v16, v15
	;; [unrolled: 1-line block ×3, first 2 shown]
	v_fmac_f32_e32 v8, v2, v71
	v_fma_f32 v1, -0.5, v0, v39
	v_add_f32_e32 v4, v16, v4
	v_add_f32_e32 v13, v13, v7
	;; [unrolled: 1-line block ×4, first 2 shown]
	v_sub_f32_e32 v17, v9, v8
	v_mov_b32_e32 v3, v1
	v_add_f32_e32 v5, v15, v4
	v_add_f32_e32 v4, v38, v9
	v_fmac_f32_e32 v39, -0.5, v7
	v_sub_f32_e32 v10, v11, v6
	v_fmac_f32_e32 v3, 0x3f737871, v17
	v_sub_f32_e32 v0, v9, v11
	v_sub_f32_e32 v2, v8, v6
	v_add_f32_e32 v4, v11, v4
	v_mov_b32_e32 v7, v39
	v_fmac_f32_e32 v1, 0xbf737871, v17
	v_fmac_f32_e32 v3, 0x3f167918, v10
	v_add_f32_e32 v18, v2, v0
	v_add_f32_e32 v0, v11, v6
	;; [unrolled: 1-line block ×3, first 2 shown]
	v_fmac_f32_e32 v7, 0x3f737871, v10
	v_fmac_f32_e32 v39, 0xbf737871, v10
	;; [unrolled: 1-line block ×3, first 2 shown]
	v_sub_f32_e32 v10, v11, v9
	v_sub_f32_e32 v6, v6, v8
	v_fma_f32 v0, -0.5, v0, v38
	v_add_f32_e32 v10, v6, v10
	v_add_f32_e32 v6, v8, v9
	v_sub_f32_e32 v19, v12, v15
	v_mov_b32_e32 v2, v0
	v_fmac_f32_e32 v38, -0.5, v6
	v_fmac_f32_e32 v2, 0xbf737871, v19
	v_mov_b32_e32 v6, v38
	s_movk_i32 s4, 0x14a
	v_fmac_f32_e32 v2, 0xbf167918, v20
	v_add_f32_e32 v4, v8, v4
	v_fmac_f32_e32 v6, 0xbf737871, v20
	v_fmac_f32_e32 v38, 0x3f737871, v20
	;; [unrolled: 1-line block ×3, first 2 shown]
	v_mad_legacy_u16 v8, v79, s4, v80
	v_fmac_f32_e32 v3, 0x3e9e377a, v14
	v_fmac_f32_e32 v2, 0x3e9e377a, v18
	;; [unrolled: 1-line block ×7, first 2 shown]
	v_lshlrev_b32_e32 v8, 3, v8
	v_fmac_f32_e32 v7, 0x3e9e377a, v13
	v_fmac_f32_e32 v39, 0x3e9e377a, v13
	;; [unrolled: 1-line block ×6, first 2 shown]
	ds_write2_b64 v8, v[4:5], v[2:3] offset1:66
	ds_write2_b64 v8, v[38:39], v[6:7] offset0:132 offset1:198
	ds_write_b64 v8, v[0:1] offset:2112
.LBB0_29:
	s_or_b64 exec, exec, s[2:3]
	v_add_u32_e32 v16, 0x800, v77
	s_waitcnt lgkmcnt(0)
	s_barrier
	ds_read2_b64 v[4:7], v16 offset0:74 offset1:239
	v_add_u32_e32 v17, 0x1400, v77
	ds_read2_b64 v[8:11], v17 offset0:20 offset1:185
	v_add_u32_e32 v18, 0x1e00, v77
	ds_read2_b64 v[12:15], v18 offset0:30 offset1:195
	s_waitcnt lgkmcnt(2)
	v_mul_f32_e32 v19, v29, v5
	v_fmac_f32_e32 v19, v28, v4
	v_mul_f32_e32 v4, v29, v4
	v_fma_f32 v4, v28, v5, -v4
	s_waitcnt lgkmcnt(1)
	v_mul_f32_e32 v5, v31, v9
	v_fmac_f32_e32 v5, v30, v8
	v_mul_f32_e32 v8, v31, v8
	v_fma_f32 v8, v30, v9, -v8
	s_waitcnt lgkmcnt(0)
	v_mul_f32_e32 v9, v68, v13
	ds_read2_b64 v[0:3], v77 offset1:165
	v_fmac_f32_e32 v9, v67, v12
	v_mul_f32_e32 v12, v68, v12
	v_fma_f32 v12, v67, v13, -v12
	v_mul_f32_e32 v13, v33, v7
	v_fmac_f32_e32 v13, v32, v6
	v_mul_f32_e32 v6, v33, v6
	v_fma_f32 v20, v32, v7, -v6
	v_mul_f32_e32 v21, v35, v11
	v_mul_f32_e32 v6, v35, v10
	v_fmac_f32_e32 v21, v34, v10
	v_fma_f32 v10, v34, v11, -v6
	v_mul_f32_e32 v11, v70, v15
	v_mul_f32_e32 v6, v70, v14
	v_fmac_f32_e32 v11, v69, v14
	v_fma_f32 v14, v69, v15, -v6
	s_waitcnt lgkmcnt(0)
	v_sub_f32_e32 v15, v0, v5
	v_sub_f32_e32 v22, v1, v8
	;; [unrolled: 1-line block ×4, first 2 shown]
	v_fma_f32 v5, v0, 2.0, -v15
	v_fma_f32 v6, v1, 2.0, -v22
	;; [unrolled: 1-line block ×4, first 2 shown]
	v_sub_f32_e32 v0, v5, v0
	v_sub_f32_e32 v1, v6, v1
	v_fma_f32 v4, v5, 2.0, -v0
	v_fma_f32 v5, v6, 2.0, -v1
	v_add_f32_e32 v6, v15, v8
	v_fma_f32 v8, v15, 2.0, -v6
	v_sub_f32_e32 v15, v2, v21
	v_sub_f32_e32 v19, v3, v10
	;; [unrolled: 1-line block ×4, first 2 shown]
	v_fma_f32 v10, v2, 2.0, -v15
	v_fma_f32 v12, v3, 2.0, -v19
	;; [unrolled: 1-line block ×4, first 2 shown]
	v_sub_f32_e32 v2, v10, v2
	v_sub_f32_e32 v3, v12, v3
	;; [unrolled: 1-line block ×3, first 2 shown]
	v_fma_f32 v10, v10, 2.0, -v2
	v_fma_f32 v11, v12, 2.0, -v3
	v_add_f32_e32 v12, v15, v14
	v_sub_f32_e32 v13, v19, v21
	v_fma_f32 v9, v22, 2.0, -v7
	v_fma_f32 v14, v15, 2.0, -v12
	;; [unrolled: 1-line block ×3, first 2 shown]
	ds_write2_b64 v77, v[4:5], v[10:11] offset1:165
	ds_write2_b64 v16, v[8:9], v[14:15] offset0:74 offset1:239
	ds_write2_b64 v17, v[0:1], v[2:3] offset0:20 offset1:185
	;; [unrolled: 1-line block ×3, first 2 shown]
	s_waitcnt lgkmcnt(0)
	s_barrier
	s_and_b64 exec, exec, s[0:1]
	s_cbranch_execz .LBB0_31
; %bb.30:
	global_load_dwordx2 v[8:9], v75, s[12:13]
	global_load_dwordx2 v[10:11], v75, s[12:13] offset:960
	global_load_dwordx2 v[12:13], v75, s[12:13] offset:1920
	;; [unrolled: 1-line block ×4, first 2 shown]
	v_mov_b32_e32 v4, s13
	v_add_co_u32_e32 v26, vcc, s12, v75
	s_movk_i32 s5, 0x1000
	v_addc_co_u32_e32 v27, vcc, 0, v4, vcc
	v_add_co_u32_e32 v24, vcc, s5, v26
	v_addc_co_u32_e32 v25, vcc, 0, v27, vcc
	global_load_dwordx2 v[28:29], v[24:25], off offset:704
	ds_read_b64 v[18:19], v77
	v_mad_u64_u32 v[16:17], s[0:1], s10, v56, 0
	v_mad_u64_u32 v[20:21], s[2:3], s8, v76, 0
	v_mov_b32_e32 v36, s7
	s_mul_i32 s3, s9, 0x3c0
	s_mul_hi_u32 s4, s8, 0x3c0
	s_movk_i32 s7, 0x2000
	s_add_i32 s3, s4, s3
	v_add_co_u32_e32 v26, vcc, s7, v26
	s_waitcnt lgkmcnt(0)
	v_mad_u64_u32 v[30:31], s[4:5], s11, v56, v[17:18]
	v_add_u32_e32 v5, 0x800, v75
	v_addc_co_u32_e32 v27, vcc, 0, v27, vcc
	ds_read2_b64 v[0:3], v75 offset0:120 offset1:240
	ds_read2_b64 v[4:7], v5 offset0:104 offset1:224
	v_mov_b32_e32 v17, v30
	v_lshlrev_b64 v[16:17], 3, v[16:17]
	s_mov_b32 s0, 0x8d3018d3
	v_add_co_u32_e32 v16, vcc, s6, v16
	v_addc_co_u32_e32 v17, vcc, v36, v17, vcc
	s_mov_b32 s1, 0x3f48d301
	s_mul_i32 s2, s8, 0x3c0
	v_mov_b32_e32 v37, s3
	v_mov_b32_e32 v38, s3
	s_waitcnt vmcnt(5)
	v_mul_f32_e32 v30, v19, v9
	v_mul_f32_e32 v9, v18, v9
	s_waitcnt vmcnt(3) lgkmcnt(1)
	v_mul_f32_e32 v36, v3, v13
	v_mul_f32_e32 v13, v2, v13
	s_waitcnt vmcnt(1)
	v_mad_u64_u32 v[31:32], s[4:5], s9, v76, v[21:22]
	global_load_dwordx2 v[32:33], v[26:27], off offset:448
	global_load_dwordx2 v[34:35], v[26:27], off offset:1408
	v_fmac_f32_e32 v30, v18, v8
	global_load_dwordx2 v[26:27], v[24:25], off offset:1664
	v_mov_b32_e32 v21, v31
	v_mul_f32_e32 v31, v1, v11
	v_mul_f32_e32 v11, v0, v11
	v_fma_f32 v8, v8, v19, -v9
	v_fmac_f32_e32 v31, v0, v10
	v_fma_f32 v10, v10, v1, -v11
	v_fmac_f32_e32 v36, v2, v12
	v_fma_f32 v18, v12, v3, -v13
	v_cvt_f64_f32_e32 v[0:1], v30
	v_cvt_f64_f32_e32 v[2:3], v8
	;; [unrolled: 1-line block ×3, first 2 shown]
	global_load_dwordx2 v[30:31], v[24:25], off offset:2624
	v_cvt_f64_f32_e32 v[10:11], v10
	v_mul_f64 v[0:1], v[0:1], s[0:1]
	v_mul_f64 v[2:3], v[2:3], s[0:1]
	v_mul_f64 v[8:9], v[8:9], s[0:1]
	v_mul_f64 v[10:11], v[10:11], s[0:1]
	v_lshlrev_b64 v[20:21], 3, v[20:21]
	v_cvt_f64_f32_e32 v[12:13], v36
	v_add_co_u32_e32 v16, vcc, v16, v20
	v_cvt_f32_f64_e32 v0, v[0:1]
	v_cvt_f32_f64_e32 v1, v[2:3]
	;; [unrolled: 1-line block ×4, first 2 shown]
	v_addc_co_u32_e32 v17, vcc, v17, v21, vcc
	v_add_co_u32_e32 v20, vcc, s2, v16
	v_addc_co_u32_e32 v21, vcc, v17, v37, vcc
	global_store_dwordx2 v[16:17], v[0:1], off
	global_store_dwordx2 v[20:21], v[2:3], off
	global_load_dwordx2 v[10:11], v[24:25], off offset:3584
	v_cvt_f64_f32_e32 v[18:19], v18
	s_waitcnt lgkmcnt(0)
	v_mul_f32_e32 v37, v5, v15
	v_fmac_f32_e32 v37, v4, v14
	v_mul_f64 v[12:13], v[12:13], s[0:1]
	v_mul_f64 v[18:19], v[18:19], s[0:1]
	v_cvt_f64_f32_e32 v[36:37], v37
	v_mul_f32_e32 v2, v4, v15
	v_fma_f32 v2, v14, v5, -v2
	v_cvt_f64_f32_e32 v[2:3], v2
	v_mul_f64 v[0:1], v[36:37], s[0:1]
	v_add_co_u32_e32 v4, vcc, s2, v20
	v_cvt_f32_f64_e32 v8, v[12:13]
	v_cvt_f32_f64_e32 v9, v[18:19]
	v_addc_co_u32_e32 v5, vcc, v21, v38, vcc
	v_mul_f64 v[2:3], v[2:3], s[0:1]
	global_store_dwordx2 v[4:5], v[8:9], off
	v_cvt_f32_f64_e32 v8, v[0:1]
	v_mul_f32_e32 v0, v7, v23
	v_fmac_f32_e32 v0, v6, v22
	v_cvt_f64_f32_e32 v[0:1], v0
	v_mul_f32_e32 v6, v6, v23
	v_fma_f32 v6, v22, v7, -v6
	v_cvt_f64_f32_e32 v[6:7], v6
	v_mul_f64 v[12:13], v[0:1], s[0:1]
	v_add_u32_e32 v0, 0x1000, v75
	v_cvt_f32_f64_e32 v9, v[2:3]
	ds_read2_b64 v[0:3], v0 offset0:88 offset1:208
	v_mov_b32_e32 v14, s3
	v_mul_f64 v[6:7], v[6:7], s[0:1]
	v_add_co_u32_e32 v4, vcc, s2, v4
	v_addc_co_u32_e32 v5, vcc, v5, v14, vcc
	global_store_dwordx2 v[4:5], v[8:9], off
	s_waitcnt vmcnt(9) lgkmcnt(0)
	v_mul_f32_e32 v8, v1, v29
	v_fmac_f32_e32 v8, v0, v28
	v_cvt_f64_f32_e32 v[8:9], v8
	v_cvt_f32_f64_e32 v12, v[12:13]
	v_cvt_f32_f64_e32 v13, v[6:7]
	v_mul_f32_e32 v0, v0, v29
	v_mul_f64 v[6:7], v[8:9], s[0:1]
	v_fma_f32 v0, v28, v1, -v0
	v_cvt_f64_f32_e32 v[0:1], v0
	v_add_co_u32_e32 v4, vcc, s2, v4
	v_addc_co_u32_e32 v5, vcc, v5, v14, vcc
	v_mul_f64 v[0:1], v[0:1], s[0:1]
	v_cvt_f32_f64_e32 v6, v[6:7]
	s_waitcnt vmcnt(6)
	v_mul_f32_e32 v7, v3, v27
	v_fmac_f32_e32 v7, v2, v26
	v_mul_f32_e32 v2, v2, v27
	v_fma_f32 v2, v26, v3, -v2
	v_cvt_f64_f32_e32 v[2:3], v2
	v_cvt_f64_f32_e32 v[8:9], v7
	v_cvt_f32_f64_e32 v7, v[0:1]
	v_add_u32_e32 v0, 0x1800, v75
	global_store_dwordx2 v[4:5], v[12:13], off
	v_mul_f64 v[12:13], v[2:3], s[0:1]
	ds_read2_b64 v[0:3], v0 offset0:72 offset1:192
	v_add_co_u32_e32 v4, vcc, s2, v4
	v_addc_co_u32_e32 v5, vcc, v5, v14, vcc
	global_store_dwordx2 v[4:5], v[6:7], off
	s_waitcnt vmcnt(7) lgkmcnt(0)
	v_mul_f32_e32 v6, v1, v31
	v_fmac_f32_e32 v6, v0, v30
	v_cvt_f64_f32_e32 v[6:7], v6
	v_mul_f64 v[8:9], v[8:9], s[0:1]
	v_mul_f32_e32 v0, v0, v31
	v_fma_f32 v0, v30, v1, -v0
	v_mul_f64 v[6:7], v[6:7], s[0:1]
	v_cvt_f64_f32_e32 v[0:1], v0
	v_add_co_u32_e32 v4, vcc, s2, v4
	v_cvt_f32_f64_e32 v8, v[8:9]
	v_cvt_f32_f64_e32 v9, v[12:13]
	v_mul_f64 v[0:1], v[0:1], s[0:1]
	v_mov_b32_e32 v12, s3
	v_cvt_f32_f64_e32 v6, v[6:7]
	s_waitcnt vmcnt(4)
	v_mul_f32_e32 v7, v3, v11
	v_addc_co_u32_e32 v5, vcc, v5, v12, vcc
	v_fmac_f32_e32 v7, v2, v10
	global_store_dwordx2 v[4:5], v[8:9], off
	v_cvt_f64_f32_e32 v[8:9], v7
	v_mul_f32_e32 v2, v2, v11
	v_fma_f32 v2, v10, v3, -v2
	v_cvt_f64_f32_e32 v[2:3], v2
	v_mul_f64 v[8:9], v[8:9], s[0:1]
	v_cvt_f32_f64_e32 v7, v[0:1]
	v_mov_b32_e32 v0, s3
	v_add_co_u32_e32 v4, vcc, s2, v4
	v_addc_co_u32_e32 v5, vcc, v5, v0, vcc
	v_add_u32_e32 v0, 0x2000, v75
	v_mul_f64 v[10:11], v[2:3], s[0:1]
	ds_read2_b64 v[0:3], v0 offset0:56 offset1:176
	global_store_dwordx2 v[4:5], v[6:7], off
	v_cvt_f32_f64_e32 v6, v[8:9]
	v_add_co_u32_e32 v4, vcc, s2, v4
	s_waitcnt lgkmcnt(0)
	v_mul_f32_e32 v8, v1, v33
	v_fmac_f32_e32 v8, v0, v32
	v_mul_f32_e32 v0, v0, v33
	v_fma_f32 v0, v32, v1, -v0
	v_cvt_f32_f64_e32 v7, v[10:11]
	v_cvt_f64_f32_e32 v[8:9], v8
	v_cvt_f64_f32_e32 v[0:1], v0
	v_mov_b32_e32 v10, s3
	v_addc_co_u32_e32 v5, vcc, v5, v10, vcc
	global_store_dwordx2 v[4:5], v[6:7], off
	v_mul_f64 v[6:7], v[8:9], s[0:1]
	v_mul_f64 v[0:1], v[0:1], s[0:1]
	v_mul_f32_e32 v8, v3, v35
	v_fmac_f32_e32 v8, v2, v34
	v_mul_f32_e32 v2, v2, v35
	v_fma_f32 v2, v34, v3, -v2
	v_cvt_f64_f32_e32 v[8:9], v8
	v_cvt_f64_f32_e32 v[2:3], v2
	v_cvt_f32_f64_e32 v6, v[6:7]
	v_cvt_f32_f64_e32 v7, v[0:1]
	v_mul_f64 v[0:1], v[8:9], s[0:1]
	v_mul_f64 v[2:3], v[2:3], s[0:1]
	v_mov_b32_e32 v8, s3
	v_add_co_u32_e32 v4, vcc, s2, v4
	v_addc_co_u32_e32 v5, vcc, v5, v8, vcc
	global_store_dwordx2 v[4:5], v[6:7], off
	v_cvt_f32_f64_e32 v0, v[0:1]
	v_cvt_f32_f64_e32 v1, v[2:3]
	v_mov_b32_e32 v3, s3
	v_add_co_u32_e32 v2, vcc, s2, v4
	v_addc_co_u32_e32 v3, vcc, v5, v3, vcc
	global_store_dwordx2 v[2:3], v[0:1], off
.LBB0_31:
	s_endpgm
	.section	.rodata,"a",@progbits
	.p2align	6, 0x0
	.amdhsa_kernel bluestein_single_back_len1320_dim1_sp_op_CI_CI
		.amdhsa_group_segment_fixed_size 10560
		.amdhsa_private_segment_fixed_size 0
		.amdhsa_kernarg_size 104
		.amdhsa_user_sgpr_count 6
		.amdhsa_user_sgpr_private_segment_buffer 1
		.amdhsa_user_sgpr_dispatch_ptr 0
		.amdhsa_user_sgpr_queue_ptr 0
		.amdhsa_user_sgpr_kernarg_segment_ptr 1
		.amdhsa_user_sgpr_dispatch_id 0
		.amdhsa_user_sgpr_flat_scratch_init 0
		.amdhsa_user_sgpr_private_segment_size 0
		.amdhsa_uses_dynamic_stack 0
		.amdhsa_system_sgpr_private_segment_wavefront_offset 0
		.amdhsa_system_sgpr_workgroup_id_x 1
		.amdhsa_system_sgpr_workgroup_id_y 0
		.amdhsa_system_sgpr_workgroup_id_z 0
		.amdhsa_system_sgpr_workgroup_info 0
		.amdhsa_system_vgpr_workitem_id 0
		.amdhsa_next_free_vgpr 167
		.amdhsa_next_free_sgpr 21
		.amdhsa_reserve_vcc 1
		.amdhsa_reserve_flat_scratch 0
		.amdhsa_float_round_mode_32 0
		.amdhsa_float_round_mode_16_64 0
		.amdhsa_float_denorm_mode_32 3
		.amdhsa_float_denorm_mode_16_64 3
		.amdhsa_dx10_clamp 1
		.amdhsa_ieee_mode 1
		.amdhsa_fp16_overflow 0
		.amdhsa_exception_fp_ieee_invalid_op 0
		.amdhsa_exception_fp_denorm_src 0
		.amdhsa_exception_fp_ieee_div_zero 0
		.amdhsa_exception_fp_ieee_overflow 0
		.amdhsa_exception_fp_ieee_underflow 0
		.amdhsa_exception_fp_ieee_inexact 0
		.amdhsa_exception_int_div_zero 0
	.end_amdhsa_kernel
	.text
.Lfunc_end0:
	.size	bluestein_single_back_len1320_dim1_sp_op_CI_CI, .Lfunc_end0-bluestein_single_back_len1320_dim1_sp_op_CI_CI
                                        ; -- End function
	.section	.AMDGPU.csdata,"",@progbits
; Kernel info:
; codeLenInByte = 12356
; NumSgprs: 25
; NumVgprs: 167
; ScratchSize: 0
; MemoryBound: 0
; FloatMode: 240
; IeeeMode: 1
; LDSByteSize: 10560 bytes/workgroup (compile time only)
; SGPRBlocks: 3
; VGPRBlocks: 41
; NumSGPRsForWavesPerEU: 25
; NumVGPRsForWavesPerEU: 167
; Occupancy: 1
; WaveLimiterHint : 1
; COMPUTE_PGM_RSRC2:SCRATCH_EN: 0
; COMPUTE_PGM_RSRC2:USER_SGPR: 6
; COMPUTE_PGM_RSRC2:TRAP_HANDLER: 0
; COMPUTE_PGM_RSRC2:TGID_X_EN: 1
; COMPUTE_PGM_RSRC2:TGID_Y_EN: 0
; COMPUTE_PGM_RSRC2:TGID_Z_EN: 0
; COMPUTE_PGM_RSRC2:TIDIG_COMP_CNT: 0
	.type	__hip_cuid_9de34169ce37cca,@object ; @__hip_cuid_9de34169ce37cca
	.section	.bss,"aw",@nobits
	.globl	__hip_cuid_9de34169ce37cca
__hip_cuid_9de34169ce37cca:
	.byte	0                               ; 0x0
	.size	__hip_cuid_9de34169ce37cca, 1

	.ident	"AMD clang version 19.0.0git (https://github.com/RadeonOpenCompute/llvm-project roc-6.4.0 25133 c7fe45cf4b819c5991fe208aaa96edf142730f1d)"
	.section	".note.GNU-stack","",@progbits
	.addrsig
	.addrsig_sym __hip_cuid_9de34169ce37cca
	.amdgpu_metadata
---
amdhsa.kernels:
  - .args:
      - .actual_access:  read_only
        .address_space:  global
        .offset:         0
        .size:           8
        .value_kind:     global_buffer
      - .actual_access:  read_only
        .address_space:  global
        .offset:         8
        .size:           8
        .value_kind:     global_buffer
      - .actual_access:  read_only
        .address_space:  global
        .offset:         16
        .size:           8
        .value_kind:     global_buffer
      - .actual_access:  read_only
        .address_space:  global
        .offset:         24
        .size:           8
        .value_kind:     global_buffer
      - .actual_access:  read_only
        .address_space:  global
        .offset:         32
        .size:           8
        .value_kind:     global_buffer
      - .offset:         40
        .size:           8
        .value_kind:     by_value
      - .address_space:  global
        .offset:         48
        .size:           8
        .value_kind:     global_buffer
      - .address_space:  global
        .offset:         56
        .size:           8
        .value_kind:     global_buffer
      - .address_space:  global
        .offset:         64
        .size:           8
        .value_kind:     global_buffer
      - .address_space:  global
        .offset:         72
        .size:           8
        .value_kind:     global_buffer
      - .offset:         80
        .size:           4
        .value_kind:     by_value
      - .address_space:  global
        .offset:         88
        .size:           8
        .value_kind:     global_buffer
      - .address_space:  global
        .offset:         96
        .size:           8
        .value_kind:     global_buffer
    .group_segment_fixed_size: 10560
    .kernarg_segment_align: 8
    .kernarg_segment_size: 104
    .language:       OpenCL C
    .language_version:
      - 2
      - 0
    .max_flat_workgroup_size: 165
    .name:           bluestein_single_back_len1320_dim1_sp_op_CI_CI
    .private_segment_fixed_size: 0
    .sgpr_count:     25
    .sgpr_spill_count: 0
    .symbol:         bluestein_single_back_len1320_dim1_sp_op_CI_CI.kd
    .uniform_work_group_size: 1
    .uses_dynamic_stack: false
    .vgpr_count:     167
    .vgpr_spill_count: 0
    .wavefront_size: 64
amdhsa.target:   amdgcn-amd-amdhsa--gfx906
amdhsa.version:
  - 1
  - 2
...

	.end_amdgpu_metadata
